;; amdgpu-corpus repo=ROCm/rocFFT kind=compiled arch=gfx1030 opt=O3
	.text
	.amdgcn_target "amdgcn-amd-amdhsa--gfx1030"
	.amdhsa_code_object_version 6
	.protected	bluestein_single_back_len432_dim1_dp_op_CI_CI ; -- Begin function bluestein_single_back_len432_dim1_dp_op_CI_CI
	.globl	bluestein_single_back_len432_dim1_dp_op_CI_CI
	.p2align	8
	.type	bluestein_single_back_len432_dim1_dp_op_CI_CI,@function
bluestein_single_back_len432_dim1_dp_op_CI_CI: ; @bluestein_single_back_len432_dim1_dp_op_CI_CI
; %bb.0:
	s_load_dwordx4 s[8:11], s[4:5], 0x28
	v_mul_u32_u24_e32 v1, 0x97c, v0
	s_mov_b64 s[26:27], s[2:3]
	s_mov_b64 s[24:25], s[0:1]
	v_mov_b32_e32 v9, 0
	s_add_u32 s24, s24, s7
	v_lshrrev_b32_e32 v3, 16, v1
	s_addc_u32 s25, s25, 0
	s_mov_b32 s0, exec_lo
	v_lshl_add_u32 v8, s6, 1, v3
	s_waitcnt lgkmcnt(0)
	v_cmpx_gt_u64_e64 s[8:9], v[8:9]
	s_cbranch_execz .LBB0_31
; %bb.1:
	s_clause 0x1
	s_load_dwordx4 s[0:3], s[4:5], 0x18
	s_load_dwordx2 s[16:17], s[4:5], 0x0
	v_mul_lo_u16 v1, v3, 27
	v_and_b32_e32 v3, 1, v3
	v_sub_nc_u16 v2, v0, v1
	v_and_b32_e32 v40, 0xffff, v2
	v_lshlrev_b32_e32 v250, 4, v40
	v_or_b32_e32 v10, 0x120, v40
	s_waitcnt lgkmcnt(0)
	s_load_dwordx4 s[12:15], s[0:1], 0x0
	s_clause 0x4
	global_load_dwordx4 v[54:57], v250, s[16:17]
	global_load_dwordx4 v[94:97], v250, s[16:17] offset:432
	global_load_dwordx4 v[122:125], v250, s[16:17] offset:864
	global_load_dwordx4 v[118:121], v250, s[16:17] offset:1296
	global_load_dwordx4 v[126:129], v250, s[16:17] offset:1728
	v_add_co_u32 v6, s0, s16, v250
	v_add_co_ci_u32_e64 v7, null, s17, 0, s0
	v_lshlrev_b32_e32 v255, 4, v10
	v_add_co_u32 v49, vcc_lo, 0x800, v6
	v_add_co_ci_u32_e32 v50, vcc_lo, 0, v7, vcc_lo
	v_add_co_u32 v11, vcc_lo, 0x1000, v6
	v_add_co_ci_u32_e32 v12, vcc_lo, 0, v7, vcc_lo
	v_add_co_u32 v47, vcc_lo, 0x1800, v6
	v_mov_b32_e32 v6, v8
	global_load_dwordx4 v[90:93], v255, s[16:17]
	v_add_co_ci_u32_e32 v48, vcc_lo, 0, v7, vcc_lo
	s_clause 0x1
	global_load_dwordx4 v[98:101], v[49:50], off offset:256
	global_load_dwordx4 v[158:161], v[49:50], off offset:688
	buffer_store_dword v6, off, s[24:27], 0 ; 4-byte Folded Spill
	buffer_store_dword v7, off, s[24:27], 0 offset:4 ; 4-byte Folded Spill
	s_clause 0x3
	global_load_dwordx4 v[154:157], v[11:12], off offset:944
	global_load_dwordx4 v[142:145], v[49:50], off offset:1120
	;; [unrolled: 1-line block ×4, first 2 shown]
	buffer_store_dword v11, off, s[24:27], 0 offset:40 ; 4-byte Folded Spill
	buffer_store_dword v12, off, s[24:27], 0 offset:44 ; 4-byte Folded Spill
	s_waitcnt lgkmcnt(0)
	v_mad_u64_u32 v[0:1], null, s14, v8, 0
	v_mad_u64_u32 v[4:5], null, s12, v40, 0
	s_mul_i32 s1, s13, 0x90
	s_mul_hi_u32 s6, s12, 0x90
	s_mul_i32 s0, s12, 0x90
	s_add_i32 s1, s6, s1
	v_mad_u64_u32 v[6:7], null, s15, v8, v[1:2]
	s_lshl_b64 s[14:15], s[0:1], 4
	s_mul_i32 s6, s13, 0xfffff8b0
	s_mul_hi_u32 s7, s12, 0xfffffefb
	s_sub_i32 s6, s6, s12
	s_mul_i32 s1, s13, 0xfffffefb
	s_sub_i32 s7, s7, s12
	v_mad_u64_u32 v[7:8], null, s13, v40, v[5:6]
	v_mov_b32_e32 v1, v6
	v_mad_u64_u32 v[8:9], null, s12, v10, 0
	s_mul_i32 s0, s12, 0xfffffefb
	s_add_i32 s1, s7, s1
	v_lshlrev_b64 v[0:1], 4, v[0:1]
	v_mov_b32_e32 v5, v7
	s_lshl_b64 s[0:1], s[0:1], 4
	v_mov_b32_e32 v6, v9
	v_lshlrev_b64 v[4:5], 4, v[4:5]
	v_add_co_u32 v7, vcc_lo, s10, v0
	v_add_co_ci_u32_e32 v14, vcc_lo, s11, v1, vcc_lo
	v_mad_u64_u32 v[0:1], null, s13, v10, v[6:7]
	v_add_co_u32 v10, vcc_lo, v7, v4
	v_mov_b32_e32 v9, v0
	global_load_dwordx4 v[134:137], v[11:12], off offset:1808
	v_add_co_ci_u32_e32 v11, vcc_lo, v14, v5, vcc_lo
	v_add_co_u32 v12, vcc_lo, v10, s14
	v_lshlrev_b64 v[4:5], 4, v[8:9]
	v_add_co_ci_u32_e32 v13, vcc_lo, s15, v11, vcc_lo
	v_mad_u64_u32 v[0:1], null, 0xfffff8b0, s12, v[12:13]
	v_add_co_u32 v4, vcc_lo, v7, v4
	v_add_co_ci_u32_e32 v5, vcc_lo, v14, v5, vcc_lo
	v_add_nc_u32_e32 v1, s6, v1
	v_add_co_u32 v20, vcc_lo, v0, s14
	s_clause 0x2
	global_load_dwordx4 v[4:7], v[4:5], off
	global_load_dwordx4 v[8:11], v[10:11], off
	;; [unrolled: 1-line block ×3, first 2 shown]
	v_add_co_ci_u32_e32 v21, vcc_lo, s15, v1, vcc_lo
	v_add_co_u32 v24, vcc_lo, v20, s14
	global_load_dwordx4 v[16:19], v[0:1], off
	v_add_co_ci_u32_e32 v25, vcc_lo, s15, v21, vcc_lo
	v_add_co_u32 v28, vcc_lo, v24, s0
	v_add_co_ci_u32_e32 v29, vcc_lo, s1, v25, vcc_lo
	v_add_co_u32 v0, vcc_lo, v28, s14
	s_clause 0x1
	global_load_dwordx4 v[20:23], v[20:21], off
	global_load_dwordx4 v[24:27], v[24:25], off
	v_add_co_ci_u32_e32 v1, vcc_lo, s15, v29, vcc_lo
	v_add_co_u32 v36, vcc_lo, v0, s14
	global_load_dwordx4 v[28:31], v[28:29], off
	v_add_co_ci_u32_e32 v37, vcc_lo, s15, v1, vcc_lo
	v_add_co_u32 v41, vcc_lo, v36, s0
	;; [unrolled: 3-line block ×5, first 2 shown]
	global_load_dwordx4 v[64:67], v[0:1], off
	v_add_co_ci_u32_e32 v42, vcc_lo, s1, v44, vcc_lo
	global_load_dwordx4 v[68:71], v[43:44], off
	v_add_co_u32 v45, vcc_lo, v41, s14
	global_load_dwordx4 v[72:75], v[41:42], off
	buffer_store_dword v49, off, s[24:27], 0 offset:72 ; 4-byte Folded Spill
	buffer_store_dword v50, off, s[24:27], 0 offset:76 ; 4-byte Folded Spill
	v_add_co_ci_u32_e32 v46, vcc_lo, s15, v42, vcc_lo
	v_add_co_u32 v0, vcc_lo, v45, s14
	global_load_dwordx4 v[146:149], v[49:50], off offset:1984
	global_load_dwordx4 v[76:79], v[45:46], off
	buffer_store_dword v47, off, s[24:27], 0 offset:48 ; 4-byte Folded Spill
	buffer_store_dword v48, off, s[24:27], 0 offset:52 ; 4-byte Folded Spill
	v_add_co_ci_u32_e32 v1, vcc_lo, s15, v46, vcc_lo
	s_waitcnt vmcnt(13)
	v_mul_f64 v[41:42], v[10:11], v[56:57]
	v_mul_f64 v[45:46], v[6:7], v[92:93]
	s_waitcnt vmcnt(12)
	v_mul_f64 v[49:50], v[14:15], v[100:101]
	s_waitcnt vmcnt(11)
	v_mul_f64 v[86:87], v[18:19], v[96:97]
	v_cmp_eq_u32_e32 vcc_lo, 1, v3
	v_mul_f64 v[43:44], v[8:9], v[56:57]
	v_mul_f64 v[84:85], v[12:13], v[100:101]
	;; [unrolled: 1-line block ×3, first 2 shown]
	s_waitcnt vmcnt(3)
	v_mul_f64 v[102:103], v[70:71], v[136:137]
	v_cndmask_b32_e64 v3, 0, 0x1b0, vcc_lo
	s_waitcnt vmcnt(2)
	v_mul_f64 v[106:107], v[74:75], v[128:129]
	v_mul_f64 v[104:105], v[68:69], v[136:137]
	;; [unrolled: 1-line block ×3, first 2 shown]
	v_cmp_gt_u16_e32 vcc_lo, 9, v2
	v_lshlrev_b32_e32 v53, 4, v3
	global_load_dwordx4 v[150:153], v[47:48], off offset:192
	global_load_dwordx4 v[80:83], v[0:1], off
	v_mul_f64 v[47:48], v[4:5], v[92:93]
	buffer_store_dword v3, off, s[24:27], 0 offset:312 ; 4-byte Folded Spill
	v_fma_f64 v[8:9], v[8:9], v[54:55], v[41:42]
	buffer_store_dword v54, off, s[24:27], 0 offset:8 ; 4-byte Folded Spill
	buffer_store_dword v55, off, s[24:27], 0 offset:12 ; 4-byte Folded Spill
	buffer_store_dword v56, off, s[24:27], 0 offset:16 ; 4-byte Folded Spill
	buffer_store_dword v57, off, s[24:27], 0 offset:20 ; 4-byte Folded Spill
	v_fma_f64 v[3:4], v[4:5], v[90:91], v[45:46]
	buffer_store_dword v90, off, s[24:27], 0 offset:208 ; 4-byte Folded Spill
	buffer_store_dword v91, off, s[24:27], 0 offset:212 ; 4-byte Folded Spill
	buffer_store_dword v92, off, s[24:27], 0 offset:216 ; 4-byte Folded Spill
	buffer_store_dword v93, off, s[24:27], 0 offset:220 ; 4-byte Folded Spill
	v_fma_f64 v[12:13], v[12:13], v[98:99], v[49:50]
	buffer_store_dword v98, off, s[24:27], 0 offset:256 ; 4-byte Folded Spill
	buffer_store_dword v99, off, s[24:27], 0 offset:260 ; 4-byte Folded Spill
	buffer_store_dword v100, off, s[24:27], 0 offset:264 ; 4-byte Folded Spill
	buffer_store_dword v101, off, s[24:27], 0 offset:268 ; 4-byte Folded Spill
	v_fma_f64 v[16:17], v[16:17], v[94:95], v[86:87]
	buffer_store_dword v94, off, s[24:27], 0 offset:24 ; 4-byte Folded Spill
	buffer_store_dword v95, off, s[24:27], 0 offset:28 ; 4-byte Folded Spill
	buffer_store_dword v96, off, s[24:27], 0 offset:32 ; 4-byte Folded Spill
	buffer_store_dword v97, off, s[24:27], 0 offset:36 ; 4-byte Folded Spill
	v_mul_f64 v[41:42], v[22:23], v[160:161]
	v_mul_f64 v[45:46], v[26:27], v[156:157]
	;; [unrolled: 1-line block ×4, first 2 shown]
	s_waitcnt vmcnt(2)
	v_mul_f64 v[110:111], v[78:79], v[148:149]
	v_mul_f64 v[92:93], v[32:33], v[144:145]
	;; [unrolled: 1-line block ×4, first 2 shown]
	v_fma_f64 v[68:69], v[68:69], v[134:135], v[102:103]
	v_fma_f64 v[72:73], v[72:73], v[126:127], v[106:107]
	v_mul_f64 v[112:113], v[76:77], v[148:149]
	v_fma_f64 v[76:77], v[76:77], v[146:147], v[110:111]
	s_waitcnt vmcnt(0)
	v_mul_f64 v[114:115], v[82:83], v[152:153]
	v_fma_f64 v[10:11], v[10:11], v[54:55], -v[43:44]
	v_mul_f64 v[43:44], v[20:21], v[160:161]
	v_fma_f64 v[5:6], v[6:7], v[90:91], -v[47:48]
	;; [unrolled: 2-line block ×4, first 2 shown]
	v_mul_f64 v[94:95], v[62:63], v[120:121]
	v_mul_f64 v[47:48], v[24:25], v[156:157]
	v_mul_f64 v[84:85], v[28:29], v[124:125]
	v_mul_f64 v[88:89], v[36:37], v[140:141]
	v_fma_f64 v[20:21], v[20:21], v[158:159], v[41:42]
	buffer_store_dword v158, off, s[24:27], 0 offset:240 ; 4-byte Folded Spill
	buffer_store_dword v159, off, s[24:27], 0 offset:244 ; 4-byte Folded Spill
	buffer_store_dword v160, off, s[24:27], 0 offset:248 ; 4-byte Folded Spill
	buffer_store_dword v161, off, s[24:27], 0 offset:252 ; 4-byte Folded Spill
	v_fma_f64 v[24:25], v[24:25], v[154:155], v[45:46]
	buffer_store_dword v154, off, s[24:27], 0 offset:224 ; 4-byte Folded Spill
	buffer_store_dword v155, off, s[24:27], 0 offset:228 ; 4-byte Folded Spill
	buffer_store_dword v156, off, s[24:27], 0 offset:232 ; 4-byte Folded Spill
	buffer_store_dword v157, off, s[24:27], 0 offset:236 ; 4-byte Folded Spill
	;; [unrolled: 5-line block ×3, first 2 shown]
	v_fma_f64 v[36:37], v[36:37], v[138:139], v[86:87]
	v_mul_f64 v[116:117], v[80:81], v[152:153]
	v_add_nc_u32_e32 v42, v53, v250
	v_fma_f64 v[80:81], v[80:81], v[150:151], v[114:115]
	v_fma_f64 v[32:33], v[32:33], v[142:143], v[90:91]
	buffer_store_dword v142, off, s[24:27], 0 offset:160 ; 4-byte Folded Spill
	buffer_store_dword v143, off, s[24:27], 0 offset:164 ; 4-byte Folded Spill
	;; [unrolled: 1-line block ×8, first 2 shown]
	v_fma_f64 v[64:65], v[64:65], v[130:131], v[98:99]
	v_fma_f64 v[60:61], v[60:61], v[118:119], v[94:95]
	buffer_store_dword v118, off, s[24:27], 0 offset:56 ; 4-byte Folded Spill
	buffer_store_dword v119, off, s[24:27], 0 offset:60 ; 4-byte Folded Spill
	;; [unrolled: 1-line block ×24, first 2 shown]
	s_load_dwordx2 s[6:7], s[4:5], 0x38
	s_load_dwordx4 s[8:11], s[2:3], 0x0
	v_fma_f64 v[22:23], v[22:23], v[158:159], -v[43:44]
	v_fma_f64 v[26:27], v[26:27], v[154:155], -v[47:48]
	;; [unrolled: 1-line block ×11, first 2 shown]
	ds_write_b128 v42, v[8:11]
	ds_write_b128 v42, v[12:15] offset:2304
	ds_write_b128 v42, v[3:6] offset:4608
	;; [unrolled: 1-line block ×14, first 2 shown]
	s_and_saveexec_b32 s2, vcc_lo
	s_cbranch_execz .LBB0_3
; %bb.2:
	v_add_co_u32 v0, s0, v0, s0
	v_add_co_ci_u32_e64 v1, s0, s1, v1, s0
	v_add_co_u32 v8, s0, v0, s14
	v_add_co_ci_u32_e64 v9, s0, s15, v1, s0
	global_load_dwordx4 v[0:3], v[0:1], off
	s_clause 0x1
	buffer_load_dword v4, off, s[24:27], 0 offset:72
	buffer_load_dword v5, off, s[24:27], 0 offset:76
	v_add_co_u32 v20, s0, v8, s14
	v_add_co_ci_u32_e64 v21, s0, s15, v9, s0
	s_waitcnt vmcnt(0)
	global_load_dwordx4 v[4:7], v[4:5], off offset:112
	global_load_dwordx4 v[8:11], v[8:9], off
	s_clause 0x1
	buffer_load_dword v12, off, s[24:27], 0 offset:40
	buffer_load_dword v13, off, s[24:27], 0 offset:44
	s_waitcnt vmcnt(3)
	v_mul_f64 v[24:25], v[2:3], v[6:7]
	v_mul_f64 v[6:7], v[0:1], v[6:7]
	s_waitcnt vmcnt(0)
	global_load_dwordx4 v[12:15], v[12:13], off offset:368
	s_clause 0x1
	buffer_load_dword v16, off, s[24:27], 0 offset:48
	buffer_load_dword v17, off, s[24:27], 0 offset:52
	s_waitcnt vmcnt(0)
	global_load_dwordx4 v[16:19], v[16:17], off offset:624
	global_load_dwordx4 v[20:23], v[20:21], off
	v_mul_f64 v[26:27], v[10:11], v[14:15]
	v_mul_f64 v[14:15], v[8:9], v[14:15]
	v_fma_f64 v[0:1], v[0:1], v[4:5], v[24:25]
	v_fma_f64 v[2:3], v[2:3], v[4:5], -v[6:7]
	v_fma_f64 v[4:5], v[8:9], v[12:13], v[26:27]
	v_fma_f64 v[6:7], v[10:11], v[12:13], -v[14:15]
	s_waitcnt vmcnt(0)
	v_mul_f64 v[28:29], v[22:23], v[18:19]
	v_mul_f64 v[18:19], v[20:21], v[18:19]
	v_fma_f64 v[8:9], v[20:21], v[16:17], v[28:29]
	v_fma_f64 v[10:11], v[22:23], v[16:17], -v[18:19]
	ds_write_b128 v42, v[0:3] offset:2160
	ds_write_b128 v42, v[4:7] offset:4464
	;; [unrolled: 1-line block ×3, first 2 shown]
.LBB0_3:
	s_or_b32 exec_lo, exec_lo, s2
	s_waitcnt lgkmcnt(0)
	s_waitcnt_vscnt null, 0x0
	s_barrier
	buffer_gl0_inv
	ds_read_b128 v[24:27], v42
	ds_read_b128 v[20:23], v42 offset:432
	ds_read_b128 v[92:95], v42 offset:4608
	;; [unrolled: 1-line block ×14, first 2 shown]
                                        ; implicit-def: $vgpr60_vgpr61
                                        ; implicit-def: $vgpr64_vgpr65
                                        ; implicit-def: $vgpr68_vgpr69
	s_and_saveexec_b32 s0, vcc_lo
	s_cbranch_execz .LBB0_5
; %bb.4:
	ds_read_b128 v[60:63], v42 offset:2160
	ds_read_b128 v[64:67], v42 offset:4464
	;; [unrolled: 1-line block ×3, first 2 shown]
.LBB0_5:
	s_or_b32 exec_lo, exec_lo, s0
	s_waitcnt lgkmcnt(4)
	v_add_f64 v[36:37], v[32:33], v[92:93]
	v_add_f64 v[38:39], v[34:35], v[94:95]
	v_add_f64 v[43:44], v[28:29], v[88:89]
	v_add_f64 v[45:46], v[30:31], v[90:91]
	v_add_f64 v[47:48], v[24:25], v[32:33]
	v_add_f64 v[49:50], v[34:35], -v[94:95]
	v_add_f64 v[34:35], v[26:27], v[34:35]
	v_add_f64 v[32:33], v[32:33], -v[92:93]
	v_add_f64 v[96:97], v[20:21], v[28:29]
	v_add_f64 v[98:99], v[30:31], -v[90:91]
	v_add_co_u32 v211, s0, v40, 27
	v_add_co_ci_u32_e64 v192, null, 0, 0, s0
	v_add_co_u32 v209, s0, 0x51, v40
	v_add_co_ci_u32_e64 v41, null, 0, 0, s0
	v_add_co_u32 v251, s0, 0x87, v40
	v_add_f64 v[104:105], v[76:77], v[72:73]
	v_add_f64 v[106:107], v[78:79], v[74:75]
	v_fma_f64 v[36:37], v[36:37], -0.5, v[24:25]
	v_fma_f64 v[38:39], v[38:39], -0.5, v[26:27]
	;; [unrolled: 1-line block ×3, first 2 shown]
	v_add_f64 v[100:101], v[22:23], v[30:31]
	s_waitcnt lgkmcnt(2)
	v_add_f64 v[108:109], v[84:85], v[4:5]
	v_add_f64 v[110:111], v[86:87], v[6:7]
	v_add_co_ci_u32_e64 v252, null, 0, 0, s0
	s_mov_b32 s0, 0xe8584caa
	s_load_dwordx2 s[2:3], s[4:5], 0x8
	s_mov_b32 s1, 0x3febb67a
	s_mov_b32 s5, 0xbfebb67a
	;; [unrolled: 1-line block ×3, first 2 shown]
	v_add_f64 v[102:103], v[28:29], -v[88:89]
	v_fma_f64 v[45:46], v[45:46], -0.5, v[22:23]
	v_add_f64 v[20:21], v[47:48], v[92:93]
	v_add_f64 v[22:23], v[34:35], v[94:95]
	s_waitcnt lgkmcnt(0)
	v_add_f64 v[47:48], v[12:13], v[0:1]
	v_add_f64 v[92:93], v[80:81], v[76:77]
	v_add_f64 v[94:95], v[66:67], v[70:71]
	v_fma_f64 v[80:81], v[104:105], -0.5, v[80:81]
	v_add_f64 v[76:77], v[76:77], -v[72:73]
	v_fma_f64 v[24:25], v[49:50], s[0:1], v[36:37]
	v_fma_f64 v[28:29], v[49:50], s[4:5], v[36:37]
	;; [unrolled: 1-line block ×4, first 2 shown]
	v_add_f64 v[32:33], v[96:97], v[88:89]
	v_fma_f64 v[36:37], v[98:99], s[0:1], v[43:44]
	v_fma_f64 v[88:89], v[98:99], s[4:5], v[43:44]
	v_add_f64 v[43:44], v[14:15], v[2:3]
	v_add_f64 v[49:50], v[64:65], v[68:69]
	v_add_f64 v[96:97], v[78:79], -v[74:75]
	v_add_f64 v[78:79], v[82:83], v[78:79]
	v_fma_f64 v[82:83], v[106:107], -0.5, v[82:83]
	v_add_f64 v[98:99], v[16:17], v[84:85]
	v_add_f64 v[104:105], v[86:87], -v[6:7]
	v_add_f64 v[86:87], v[18:19], v[86:87]
	v_add_f64 v[34:35], v[100:101], v[90:91]
	v_fma_f64 v[100:101], v[108:109], -0.5, v[16:17]
	v_fma_f64 v[106:107], v[110:111], -0.5, v[18:19]
	v_add_f64 v[84:85], v[84:85], -v[4:5]
	v_fma_f64 v[38:39], v[102:103], s[4:5], v[45:46]
	v_add_f64 v[108:109], v[8:9], v[12:13]
	v_fma_f64 v[47:48], v[47:48], -0.5, v[8:9]
	v_add_f64 v[110:111], v[14:15], -v[2:3]
	v_fma_f64 v[90:91], v[102:103], s[0:1], v[45:46]
	v_add_f64 v[102:103], v[12:13], -v[0:1]
	v_add_f64 v[112:113], v[66:67], -v[70:71]
	v_add_f64 v[8:9], v[92:93], v[72:73]
	v_fma_f64 v[92:93], v[94:95], -0.5, v[62:63]
	v_add_f64 v[94:95], v[64:65], -v[68:69]
	v_fma_f64 v[43:44], v[43:44], -0.5, v[10:11]
	v_fma_f64 v[49:50], v[49:50], -0.5, v[60:61]
	v_add_f64 v[45:46], v[10:11], v[14:15]
	v_mul_lo_u16 v41, v40, 3
	v_fma_f64 v[16:17], v[96:97], s[4:5], v[80:81]
	v_add_f64 v[10:11], v[78:79], v[74:75]
	v_fma_f64 v[18:19], v[76:77], s[0:1], v[82:83]
	v_add_f64 v[4:5], v[98:99], v[4:5]
	v_add_f64 v[6:7], v[86:87], v[6:7]
	v_fma_f64 v[12:13], v[96:97], s[0:1], v[80:81]
	v_fma_f64 v[14:15], v[76:77], s[4:5], v[82:83]
	v_fma_f64 v[72:73], v[104:105], s[0:1], v[100:101]
	v_fma_f64 v[74:75], v[84:85], s[4:5], v[106:107]
	v_and_b32_e32 v41, 0xffff, v41
	v_fma_f64 v[76:77], v[104:105], s[4:5], v[100:101]
	v_fma_f64 v[78:79], v[84:85], s[0:1], v[106:107]
	;; [unrolled: 1-line block ×3, first 2 shown]
	v_add_f64 v[0:1], v[108:109], v[0:1]
	v_add_co_u32 v210, null, v40, 54
	v_fma_f64 v[80:81], v[110:111], s[0:1], v[47:48]
	v_fma_f64 v[126:127], v[94:95], s[4:5], v[92:93]
	;; [unrolled: 1-line block ×6, first 2 shown]
	v_add_f64 v[2:3], v[45:46], v[2:3]
	v_fma_f64 v[82:83], v[102:103], s[4:5], v[43:44]
	v_lshl_add_u32 v44, v41, 4, v53
	v_add_co_u32 v208, null, 0x6c, v40
	v_mul_u32_u24_e32 v43, 3, v211
	s_barrier
	buffer_gl0_inv
	ds_write_b128 v44, v[20:23]
	v_mul_u32_u24_e32 v20, 3, v210
	v_mul_u32_u24_e32 v21, 3, v209
	v_lshl_add_u32 v41, v43, 4, v53
	ds_write_b128 v44, v[24:27] offset:16
	buffer_store_dword v44, off, s[24:27], 0 offset:288 ; 4-byte Folded Spill
	v_lshl_add_u32 v22, v20, 4, v53
	v_mul_u32_u24_e32 v20, 3, v208
	v_lshl_add_u32 v21, v21, 4, v53
	ds_write_b128 v44, v[28:31] offset:32
	ds_write_b128 v41, v[32:35]
	ds_write_b128 v41, v[36:39] offset:16
	buffer_store_dword v41, off, s[24:27], 0 offset:272 ; 4-byte Folded Spill
	ds_write_b128 v41, v[88:91] offset:32
	ds_write_b128 v22, v[8:11]
	ds_write_b128 v22, v[12:15] offset:16
	buffer_store_dword v22, off, s[24:27], 0 offset:280 ; 4-byte Folded Spill
	ds_write_b128 v22, v[16:19] offset:32
	v_lshl_add_u32 v8, v20, 4, v53
	ds_write_b128 v21, v[4:7]
	ds_write_b128 v21, v[72:75] offset:16
	v_mul_u32_u24_e32 v4, 3, v251
	buffer_store_dword v4, off, s[24:27], 0 offset:316 ; 4-byte Folded Spill
	buffer_store_dword v21, off, s[24:27], 0 offset:284 ; 4-byte Folded Spill
	ds_write_b128 v21, v[76:79] offset:32
	ds_write_b128 v8, v[0:3]
	ds_write_b128 v8, v[80:83] offset:16
	buffer_store_dword v8, off, s[24:27], 0 offset:276 ; 4-byte Folded Spill
	ds_write_b128 v8, v[84:87] offset:32
	s_and_saveexec_b32 s0, vcc_lo
	s_cbranch_execz .LBB0_7
; %bb.6:
	v_add_f64 v[0:1], v[62:63], v[66:67]
	v_add_f64 v[4:5], v[60:61], v[64:65]
	;; [unrolled: 1-line block ×4, first 2 shown]
	v_mul_u32_u24_e32 v4, 3, v251
	v_lshl_add_u32 v4, v4, 4, v53
	ds_write_b128 v4, v[124:127] offset:16
	ds_write_b128 v4, v[0:3]
	ds_write_b128 v4, v[128:131] offset:32
.LBB0_7:
	s_or_b32 exec_lo, exec_lo, s0
	v_and_b32_e32 v0, 0xff, v40
	s_waitcnt lgkmcnt(0)
	s_waitcnt_vscnt null, 0x0
	s_barrier
	buffer_gl0_inv
	s_mov_b32 s0, 0x667f3bcd
	v_mul_lo_u16 v0, 0xab, v0
	s_mov_b32 s1, 0xbfe6a09e
	s_mov_b32 s5, 0x3fe6a09e
	;; [unrolled: 1-line block ×4, first 2 shown]
	v_lshrrev_b16 v41, 9, v0
	s_mov_b32 s14, 0xa6aea964
	s_mov_b32 s13, 0xbfed906b
	;; [unrolled: 1-line block ×4, first 2 shown]
	v_mul_lo_u16 v0, v41, 3
	s_mov_b32 s21, 0x3fed906b
	s_mov_b32 s20, s12
	;; [unrolled: 1-line block ×3, first 2 shown]
	v_sub_nc_u16 v0, v40, v0
	v_and_b32_e32 v136, 0xff, v0
	v_mad_u64_u32 v[20:21], null, 0xf0, v136, s[2:3]
	s_clause 0x7
	global_load_dwordx4 v[72:75], v[20:21], off
	global_load_dwordx4 v[68:71], v[20:21], off offset:16
	global_load_dwordx4 v[60:63], v[20:21], off offset:32
	;; [unrolled: 1-line block ×7, first 2 shown]
	ds_read_b128 v[0:3], v42 offset:432
	ds_read_b128 v[4:7], v42 offset:864
	;; [unrolled: 1-line block ×3, first 2 shown]
	s_clause 0x1
	global_load_dwordx4 v[96:99], v[20:21], off offset:128
	global_load_dwordx4 v[92:95], v[20:21], off offset:144
	ds_read_b128 v[12:15], v42 offset:1728
	ds_read_b128 v[16:19], v42 offset:2160
	s_waitcnt vmcnt(9) lgkmcnt(4)
	v_mul_f64 v[22:23], v[2:3], v[74:75]
	v_mul_f64 v[24:25], v[0:1], v[74:75]
	s_waitcnt vmcnt(8) lgkmcnt(3)
	v_mul_f64 v[26:27], v[6:7], v[70:71]
	v_mul_f64 v[28:29], v[4:5], v[70:71]
	;; [unrolled: 3-line block ×4, first 2 shown]
	s_waitcnt vmcnt(5) lgkmcnt(0)
	v_mul_f64 v[38:39], v[16:17], v[90:91]
	v_fma_f64 v[22:23], v[0:1], v[72:73], -v[22:23]
	v_fma_f64 v[43:44], v[2:3], v[72:73], v[24:25]
	ds_read_b128 v[0:3], v42 offset:2592
	v_fma_f64 v[24:25], v[4:5], v[68:69], -v[26:27]
	v_fma_f64 v[26:27], v[6:7], v[68:69], v[28:29]
	ds_read_b128 v[4:7], v42 offset:3024
	v_mul_f64 v[28:29], v[18:19], v[90:91]
	v_fma_f64 v[45:46], v[8:9], v[60:61], -v[30:31]
	v_fma_f64 v[47:48], v[10:11], v[60:61], v[32:33]
	v_fma_f64 v[30:31], v[12:13], v[64:65], -v[34:35]
	v_fma_f64 v[32:33], v[14:15], v[64:65], v[36:37]
	v_fma_f64 v[49:50], v[18:19], v[88:89], v[38:39]
	s_waitcnt vmcnt(4) lgkmcnt(1)
	v_mul_f64 v[8:9], v[2:3], v[86:87]
	v_mul_f64 v[10:11], v[0:1], v[86:87]
	s_waitcnt vmcnt(3) lgkmcnt(0)
	v_mul_f64 v[12:13], v[6:7], v[78:79]
	v_mul_f64 v[14:15], v[4:5], v[78:79]
	v_fma_f64 v[34:35], v[16:17], v[88:89], -v[28:29]
	v_fma_f64 v[28:29], v[0:1], v[84:85], -v[8:9]
	v_fma_f64 v[120:121], v[2:3], v[84:85], v[10:11]
	ds_read_b128 v[0:3], v42 offset:3456
	v_fma_f64 v[122:123], v[4:5], v[76:77], -v[12:13]
	v_fma_f64 v[137:138], v[6:7], v[76:77], v[14:15]
	ds_read_b128 v[4:7], v42 offset:3888
	s_waitcnt vmcnt(2) lgkmcnt(1)
	v_mul_f64 v[8:9], v[2:3], v[82:83]
	v_fma_f64 v[8:9], v[0:1], v[80:81], -v[8:9]
	v_mul_f64 v[0:1], v[0:1], v[82:83]
	v_fma_f64 v[10:11], v[2:3], v[80:81], v[0:1]
	s_waitcnt vmcnt(1) lgkmcnt(0)
	v_mul_f64 v[0:1], v[6:7], v[98:99]
	v_fma_f64 v[12:13], v[4:5], v[96:97], -v[0:1]
	v_mul_f64 v[0:1], v[4:5], v[98:99]
	v_fma_f64 v[14:15], v[6:7], v[96:97], v[0:1]
	ds_read_b128 v[0:3], v42 offset:4320
	ds_read_b128 v[4:7], v42 offset:4752
	s_clause 0x1
	global_load_dwordx4 v[100:103], v[20:21], off offset:160
	global_load_dwordx4 v[104:107], v[20:21], off offset:176
	s_waitcnt vmcnt(2) lgkmcnt(1)
	v_mul_f64 v[16:17], v[2:3], v[94:95]
	v_fma_f64 v[132:133], v[0:1], v[92:93], -v[16:17]
	v_mul_f64 v[0:1], v[0:1], v[94:95]
	v_fma_f64 v[134:135], v[2:3], v[92:93], v[0:1]
	s_waitcnt vmcnt(1) lgkmcnt(0)
	v_mul_f64 v[0:1], v[6:7], v[102:103]
	v_fma_f64 v[139:140], v[4:5], v[100:101], -v[0:1]
	v_mul_f64 v[0:1], v[4:5], v[102:103]
	v_fma_f64 v[141:142], v[6:7], v[100:101], v[0:1]
	ds_read_b128 v[0:3], v42 offset:5184
	ds_read_b128 v[4:7], v42 offset:5616
	s_clause 0x1
	global_load_dwordx4 v[108:111], v[20:21], off offset:192
	global_load_dwordx4 v[116:119], v[20:21], off offset:208
	s_waitcnt vmcnt(2) lgkmcnt(1)
	v_mul_f64 v[16:17], v[2:3], v[106:107]
	v_fma_f64 v[36:37], v[0:1], v[104:105], -v[16:17]
	v_mul_f64 v[0:1], v[0:1], v[106:107]
	v_add_f64 v[36:37], v[30:31], -v[36:37]
	v_fma_f64 v[38:39], v[2:3], v[104:105], v[0:1]
	v_add_f64 v[38:39], v[32:33], -v[38:39]
	s_waitcnt vmcnt(1) lgkmcnt(0)
	v_mul_f64 v[0:1], v[6:7], v[110:111]
	v_fma_f64 v[143:144], v[4:5], v[108:109], -v[0:1]
	v_mul_f64 v[0:1], v[4:5], v[110:111]
	v_fma_f64 v[145:146], v[6:7], v[108:109], v[0:1]
	ds_read_b128 v[0:3], v42 offset:6048
	ds_read_b128 v[4:7], v42 offset:6480
	global_load_dwordx4 v[112:115], v[20:21], off offset:224
	s_waitcnt vmcnt(1) lgkmcnt(1)
	v_mul_f64 v[16:17], v[2:3], v[118:119]
	v_add_f64 v[145:146], v[49:50], -v[145:146]
	v_fma_f64 v[147:148], v[0:1], v[116:117], -v[16:17]
	v_mul_f64 v[0:1], v[0:1], v[118:119]
	v_fma_f64 v[149:150], v[2:3], v[116:117], v[0:1]
	s_waitcnt vmcnt(0) lgkmcnt(0)
	v_mul_f64 v[0:1], v[6:7], v[114:115]
	v_fma_f64 v[20:21], v[4:5], v[112:113], -v[0:1]
	v_mul_f64 v[0:1], v[4:5], v[114:115]
	v_fma_f64 v[151:152], v[6:7], v[112:113], v[0:1]
	ds_read_b128 v[4:7], v42
	s_waitcnt lgkmcnt(0)
	s_barrier
	buffer_gl0_inv
	v_add_f64 v[0:1], v[4:5], -v[8:9]
	v_add_f64 v[2:3], v[6:7], -v[10:11]
	v_add_f64 v[10:11], v[22:23], -v[12:13]
	v_add_f64 v[8:9], v[43:44], -v[14:15]
	v_add_f64 v[14:15], v[45:46], -v[139:140]
	v_add_f64 v[12:13], v[47:48], -v[141:142]
	v_fma_f64 v[139:140], v[32:33], 2.0, -v[38:39]
	v_fma_f64 v[16:17], v[4:5], 2.0, -v[0:1]
	;; [unrolled: 1-line block ×3, first 2 shown]
	v_add_f64 v[4:5], v[24:25], -v[132:133]
	v_add_f64 v[6:7], v[26:27], -v[134:135]
	;; [unrolled: 1-line block ×7, first 2 shown]
	v_fma_f64 v[20:21], v[30:31], 2.0, -v[36:37]
	v_fma_f64 v[30:31], v[43:44], 2.0, -v[8:9]
	;; [unrolled: 1-line block ×4, first 2 shown]
	v_add_f64 v[165:166], v[2:3], v[36:37]
	v_add_f64 v[145:146], v[10:11], -v[145:146]
	v_fma_f64 v[24:25], v[24:25], 2.0, -v[4:5]
	v_fma_f64 v[26:27], v[26:27], 2.0, -v[6:7]
	;; [unrolled: 1-line block ×9, first 2 shown]
	v_add_f64 v[122:123], v[18:19], -v[139:140]
	v_add_f64 v[43:44], v[30:31], -v[43:44]
	;; [unrolled: 1-line block ×3, first 2 shown]
	v_add_f64 v[167:168], v[6:7], v[132:133]
	v_add_f64 v[149:150], v[14:15], -v[149:150]
	v_add_f64 v[147:148], v[8:9], v[147:148]
	v_add_f64 v[151:152], v[12:13], v[151:152]
	v_fma_f64 v[10:11], v[10:11], 2.0, -v[145:146]
	v_add_f64 v[49:50], v[24:25], -v[141:142]
	v_add_f64 v[155:156], v[28:29], -v[22:23]
	v_add_f64 v[47:48], v[32:33], -v[47:48]
	v_add_f64 v[153:154], v[26:27], -v[143:144]
	v_add_f64 v[45:46], v[34:35], -v[45:46]
	v_fma_f64 v[30:31], v[30:31], 2.0, -v[43:44]
	v_fma_f64 v[14:15], v[14:15], 2.0, -v[149:150]
	v_add_f64 v[22:23], v[122:123], v[49:50]
	v_fma_f64 v[28:29], v[28:29], 2.0, -v[155:156]
	v_add_f64 v[143:144], v[43:44], v[47:48]
	v_add_f64 v[20:21], v[120:121], -v[153:154]
	v_add_f64 v[141:142], v[155:156], -v[45:46]
	v_fma_f64 v[161:162], v[122:123], 2.0, -v[22:23]
	v_fma_f64 v[122:123], v[18:19], 2.0, -v[122:123]
	;; [unrolled: 1-line block ×4, first 2 shown]
	v_fma_f64 v[139:140], v[143:144], s[4:5], v[22:23]
	v_fma_f64 v[159:160], v[120:121], 2.0, -v[20:21]
	v_fma_f64 v[137:138], v[141:142], s[4:5], v[20:21]
	v_fma_f64 v[157:158], v[155:156], 2.0, -v[141:142]
	v_fma_f64 v[120:121], v[16:17], 2.0, -v[120:121]
	;; [unrolled: 1-line block ×4, first 2 shown]
	v_mov_b32_e32 v32, 48
	v_mul_u32_u24_sdwa v32, v41, v32 dst_sel:DWORD dst_unused:UNUSED_PAD src0_sel:WORD_0 src1_sel:DWORD
	v_or_b32_e32 v41, v32, v136
	v_add_f64 v[34:35], v[122:123], -v[18:19]
	v_add_f64 v[45:46], v[28:29], -v[26:27]
	v_fma_f64 v[139:140], v[141:142], s[4:5], v[139:140]
	v_fma_f64 v[141:142], v[43:44], 2.0, -v[143:144]
	v_fma_f64 v[137:138], v[143:144], s[0:1], v[137:138]
	v_fma_f64 v[143:144], v[157:158], s[0:1], v[159:160]
	v_lshl_add_u32 v41, v41, 4, v53
	v_add_f64 v[32:33], v[120:121], -v[16:17]
	v_add_f64 v[43:44], v[30:31], -v[24:25]
	v_add_f64 v[18:19], v[34:35], v[45:46]
	v_fma_f64 v[163:164], v[141:142], s[0:1], v[161:162]
	ds_write_b128 v41, v[137:140] offset:672
	v_fma_f64 v[141:142], v[141:142], s[0:1], v[143:144]
	v_add_f64 v[16:17], v[32:33], -v[43:44]
	v_fma_f64 v[26:27], v[34:35], 2.0, -v[18:19]
	v_fma_f64 v[143:144], v[157:158], s[4:5], v[163:164]
	v_add_f64 v[157:158], v[0:1], -v[38:39]
	v_add_f64 v[163:164], v[4:5], -v[134:135]
	v_fma_f64 v[38:39], v[151:152], s[4:5], v[147:148]
	ds_write_b128 v41, v[16:19] offset:576
	v_fma_f64 v[18:19], v[22:23], 2.0, -v[139:140]
	v_fma_f64 v[22:23], v[2:3], 2.0, -v[165:166]
	;; [unrolled: 1-line block ×6, first 2 shown]
	ds_write_b128 v41, v[24:27] offset:192
	ds_write_b128 v41, v[16:19] offset:288
	v_fma_f64 v[36:37], v[163:164], s[4:5], v[157:158]
	v_fma_f64 v[20:21], v[0:1], 2.0, -v[157:158]
	v_fma_f64 v[0:1], v[4:5], 2.0, -v[163:164]
	;; [unrolled: 1-line block ×3, first 2 shown]
	v_fma_f64 v[8:9], v[14:15], s[0:1], v[10:11]
	v_fma_f64 v[12:13], v[2:3], s[0:1], v[22:23]
	;; [unrolled: 1-line block ×3, first 2 shown]
	ds_write_b128 v41, v[141:144] offset:480
	v_fma_f64 v[169:170], v[167:168], s[0:1], v[36:37]
	v_fma_f64 v[36:37], v[167:168], s[4:5], v[165:166]
	;; [unrolled: 1-line block ×6, first 2 shown]
	v_fma_f64 v[175:176], v[157:158], 2.0, -v[169:170]
	v_fma_f64 v[171:172], v[163:164], s[4:5], v[36:37]
	v_fma_f64 v[36:37], v[149:150], s[4:5], v[145:146]
	v_fma_f64 v[10:11], v[10:11], 2.0, -v[8:9]
	v_fma_f64 v[6:7], v[14:15], s[4:5], v[6:7]
	v_fma_f64 v[138:139], v[22:23], 2.0, -v[47:48]
	;; [unrolled: 2-line block ×3, first 2 shown]
	v_fma_f64 v[134:135], v[38:39], s[20:21], v[171:172]
	v_fma_f64 v[36:37], v[151:152], s[0:1], v[36:37]
	v_fma_f64 v[177:178], v[165:166], 2.0, -v[171:172]
	v_fma_f64 v[0:1], v[6:7], s[18:19], v[47:48]
	v_fma_f64 v[4:5], v[4:5], 2.0, -v[6:7]
	;; [unrolled: 2-line block ×3, first 2 shown]
	v_fma_f64 v[132:133], v[36:37], s[20:21], v[169:170]
	v_fma_f64 v[134:135], v[36:37], s[18:19], v[134:135]
	v_fma_f64 v[173:174], v[145:146], 2.0, -v[36:37]
	v_fma_f64 v[2:3], v[8:9], s[20:21], v[0:1]
	v_fma_f64 v[8:9], v[4:5], s[12:13], v[138:139]
	;; [unrolled: 1-line block ×4, first 2 shown]
	v_fma_f64 v[36:37], v[147:148], 2.0, -v[38:39]
	v_fma_f64 v[12:13], v[120:121], 2.0, -v[32:33]
	v_fma_f64 v[132:133], v[38:39], s[14:15], v[132:133]
	v_fma_f64 v[38:39], v[173:174], s[14:15], v[175:176]
	v_fma_f64 v[22:23], v[47:48], 2.0, -v[2:3]
	v_fma_f64 v[20:21], v[49:50], 2.0, -v[0:1]
	v_fma_f64 v[4:5], v[4:5], s[14:15], v[6:7]
	v_fma_f64 v[6:7], v[10:11], s[18:19], v[8:9]
	v_fma_f64 v[10:11], v[171:172], 2.0, -v[134:135]
	v_fma_f64 v[179:180], v[36:37], s[14:15], v[177:178]
	v_fma_f64 v[8:9], v[169:170], 2.0, -v[132:133]
	v_fma_f64 v[36:37], v[36:37], s[12:13], v[38:39]
	v_fma_f64 v[38:39], v[173:174], s[20:21], v[179:180]
	ds_write_b128 v41, v[8:11] offset:336
	v_fma_f64 v[8:9], v[28:29], 2.0, -v[45:46]
	v_fma_f64 v[10:11], v[30:31], 2.0, -v[43:44]
	;; [unrolled: 1-line block ×4, first 2 shown]
	ds_write_b128 v41, v[36:39] offset:528
	v_add_f64 v[8:9], v[12:13], -v[8:9]
	v_add_f64 v[10:11], v[14:15], -v[10:11]
	v_fma_f64 v[12:13], v[12:13], 2.0, -v[8:9]
	v_fma_f64 v[14:15], v[14:15], 2.0, -v[10:11]
	ds_write_b128 v41, v[8:11] offset:384
	v_fma_f64 v[8:9], v[159:160], 2.0, -v[141:142]
	v_fma_f64 v[10:11], v[161:162], 2.0, -v[143:144]
	ds_write_b128 v41, v[0:3] offset:624
	ds_write_b128 v41, v[12:15]
	ds_write_b128 v41, v[8:11] offset:96
	ds_write_b128 v41, v[16:19] offset:144
	;; [unrolled: 1-line block ×3, first 2 shown]
	v_fma_f64 v[0:1], v[136:137], 2.0, -v[4:5]
	v_fma_f64 v[2:3], v[138:139], 2.0, -v[6:7]
	ds_write_b128 v41, v[132:135] offset:720
	ds_write_b128 v41, v[4:7] offset:432
	;; [unrolled: 1-line block ×3, first 2 shown]
	s_waitcnt lgkmcnt(0)
	s_barrier
	buffer_gl0_inv
	ds_read_b128 v[176:179], v42
	ds_read_b128 v[144:147], v42 offset:432
	ds_read_b128 v[148:151], v42 offset:4608
	ds_read_b128 v[164:167], v42 offset:5040
	ds_read_b128 v[168:171], v42 offset:2736
	ds_read_b128 v[184:187], v42 offset:3168
	ds_read_b128 v[172:175], v42 offset:864
	ds_read_b128 v[140:143], v42 offset:1296
	ds_read_b128 v[188:191], v42 offset:5472
	ds_read_b128 v[152:155], v42 offset:5904
	ds_read_b128 v[156:159], v42 offset:2304
	ds_read_b128 v[136:139], v42 offset:1728
	ds_read_b128 v[160:163], v42 offset:3600
	ds_read_b128 v[204:207], v42 offset:4032
	ds_read_b128 v[200:203], v42 offset:6336
	s_and_saveexec_b32 s0, vcc_lo
	s_cbranch_execz .LBB0_9
; %bb.8:
	ds_read_b128 v[132:135], v42 offset:2160
	ds_read_b128 v[124:127], v42 offset:4464
	;; [unrolled: 1-line block ×3, first 2 shown]
.LBB0_9:
	s_or_b32 exec_lo, exec_lo, s0
	v_lshlrev_b32_e32 v0, 5, v40
	v_add_nc_u32_e32 v51, 6, v40
	v_mov_b32_e32 v11, 5
	s_mov_b32 s4, 0xe8584caa
	s_mov_b32 s5, 0x3febb67a
	s_clause 0x1
	global_load_dwordx4 v[120:123], v0, s[2:3] offset:720
	global_load_dwordx4 v[180:183], v0, s[2:3] offset:736
	v_lshlrev_b32_e32 v9, 5, v51
	s_mov_b32 s13, 0xbfebb67a
	s_mov_b32 s12, s4
	s_waitcnt vmcnt(1) lgkmcnt(4)
	v_mul_f64 v[1:2], v[158:159], v[122:123]
	s_waitcnt vmcnt(0)
	v_mul_f64 v[3:4], v[150:151], v[182:183]
	v_fma_f64 v[5:6], v[156:157], v[120:121], -v[1:2]
	v_mul_f64 v[1:2], v[156:157], v[122:123]
	v_fma_f64 v[7:8], v[148:149], v[180:181], -v[3:4]
	v_mul_f64 v[3:4], v[148:149], v[182:183]
	v_add_f64 v[31:32], v[176:177], v[5:6]
	v_fma_f64 v[1:2], v[158:159], v[120:121], v[1:2]
	v_fma_f64 v[3:4], v[150:151], v[180:181], v[3:4]
	s_clause 0x1
	global_load_dwordx4 v[156:159], v9, s[2:3] offset:720
	global_load_dwordx4 v[148:151], v9, s[2:3] offset:736
	v_add_f64 v[29:30], v[178:179], v[1:2]
	s_waitcnt vmcnt(1)
	v_mul_f64 v[9:10], v[186:187], v[158:159]
	v_fma_f64 v[13:14], v[184:185], v[156:157], -v[9:10]
	v_mul_f64 v[9:10], v[184:185], v[158:159]
	v_fma_f64 v[15:16], v[186:187], v[156:157], v[9:10]
	s_waitcnt vmcnt(0)
	v_mul_f64 v[9:10], v[190:191], v[150:151]
	v_fma_f64 v[17:18], v[188:189], v[148:149], -v[9:10]
	v_mul_f64 v[9:10], v[188:189], v[150:151]
	v_fma_f64 v[19:20], v[190:191], v[148:149], v[9:10]
	v_add_co_u32 v9, s0, 0xffffffeb, v40
	v_add_co_ci_u32_e64 v10, null, 0, -1, s0
	v_cmp_gt_u16_e64 s0, 21, v40
	v_cndmask_b32_e64 v34, v10, v192, s0
	v_cndmask_b32_e64 v33, v9, v211, s0
	v_lshlrev_b64 v[9:10], 5, v[33:34]
	v_add_co_u32 v9, s0, s2, v9
	v_add_co_ci_u32_e64 v10, s0, s3, v10, s0
	s_clause 0x1
	global_load_dwordx4 v[192:195], v[9:10], off offset:720
	global_load_dwordx4 v[196:199], v[9:10], off offset:736
	v_cmp_lt_u16_e64 s0, 20, v40
	s_waitcnt vmcnt(1)
	v_mul_f64 v[9:10], v[170:171], v[194:195]
	v_fma_f64 v[25:26], v[168:169], v[192:193], -v[9:10]
	v_mul_f64 v[9:10], v[168:169], v[194:195]
	v_fma_f64 v[21:22], v[170:171], v[192:193], v[9:10]
	s_waitcnt vmcnt(0)
	v_mul_f64 v[9:10], v[166:167], v[198:199]
	v_fma_f64 v[27:28], v[164:165], v[196:197], -v[9:10]
	v_mul_f64 v[9:10], v[164:165], v[198:199]
	v_fma_f64 v[23:24], v[166:167], v[196:197], v[9:10]
	v_and_b32_e32 v9, 0xff, v209
	v_mul_lo_u16 v9, 0xab, v9
	v_lshrrev_b16 v52, 13, v9
	v_mul_lo_u16 v9, v52, 48
	v_sub_nc_u16 v54, v209, v9
	v_lshlrev_b32_sdwa v9, v11, v54 dst_sel:DWORD dst_unused:UNUSED_PAD src0_sel:DWORD src1_sel:BYTE_0
	s_clause 0x1
	global_load_dwordx4 v[164:167], v9, s[2:3] offset:720
	global_load_dwordx4 v[168:171], v9, s[2:3] offset:736
	s_waitcnt vmcnt(1) lgkmcnt(2)
	v_mul_f64 v[9:10], v[162:163], v[166:167]
	v_fma_f64 v[34:35], v[160:161], v[164:165], -v[9:10]
	v_mul_f64 v[9:10], v[160:161], v[166:167]
	v_fma_f64 v[36:37], v[162:163], v[164:165], v[9:10]
	s_waitcnt vmcnt(0)
	v_mul_f64 v[9:10], v[154:155], v[170:171]
	v_fma_f64 v[38:39], v[152:153], v[168:169], -v[9:10]
	v_mul_f64 v[9:10], v[152:153], v[170:171]
	v_fma_f64 v[43:44], v[154:155], v[168:169], v[9:10]
	v_and_b32_e32 v9, 0xff, v251
	v_mul_lo_u16 v9, 0xab, v9
	v_lshrrev_b16 v9, 13, v9
	v_mul_lo_u16 v9, v9, 48
	v_sub_nc_u16 v55, v251, v9
	v_lshlrev_b32_sdwa v9, v11, v55 dst_sel:DWORD dst_unused:UNUSED_PAD src0_sel:DWORD src1_sel:BYTE_0
	s_clause 0x1
	global_load_dwordx4 v[152:155], v9, s[2:3] offset:720
	global_load_dwordx4 v[160:163], v9, s[2:3] offset:736
	v_add_f64 v[11:12], v[1:2], v[3:4]
	v_fma_f64 v[11:12], v[11:12], -0.5, v[178:179]
	s_waitcnt vmcnt(1) lgkmcnt(1)
	v_mul_f64 v[9:10], v[126:127], v[154:155]
	v_fma_f64 v[45:46], v[124:125], v[152:153], -v[9:10]
	v_mul_f64 v[9:10], v[124:125], v[154:155]
	v_fma_f64 v[47:48], v[126:127], v[152:153], v[9:10]
	s_waitcnt vmcnt(0) lgkmcnt(0)
	v_mul_f64 v[9:10], v[130:131], v[162:163]
	v_fma_f64 v[49:50], v[128:129], v[160:161], -v[9:10]
	v_mul_f64 v[9:10], v[128:129], v[162:163]
	v_fma_f64 v[124:125], v[130:131], v[160:161], v[9:10]
	v_and_b32_e32 v9, 0xff, v208
	v_mul_lo_u16 v9, 0xab, v9
	v_lshrrev_b16 v9, 13, v9
	v_mul_lo_u16 v9, v9, 48
	v_sub_nc_u16 v9, v208, v9
	v_and_b32_e32 v56, 0xff, v9
	v_lshlrev_b32_e32 v9, 5, v56
	s_clause 0x1
	global_load_dwordx4 v[184:187], v9, s[2:3] offset:720
	global_load_dwordx4 v[188:191], v9, s[2:3] offset:736
	s_waitcnt vmcnt(0)
	s_barrier
	buffer_gl0_inv
	v_mul_f64 v[9:10], v[206:207], v[186:187]
	v_fma_f64 v[126:127], v[204:205], v[184:185], -v[9:10]
	v_mul_f64 v[9:10], v[204:205], v[186:187]
	v_fma_f64 v[128:129], v[206:207], v[184:185], v[9:10]
	v_mul_f64 v[9:10], v[202:203], v[190:191]
	v_fma_f64 v[130:131], v[200:201], v[188:189], -v[9:10]
	v_mul_f64 v[9:10], v[200:201], v[190:191]
	v_fma_f64 v[200:201], v[202:203], v[188:189], v[9:10]
	v_add_f64 v[9:10], v[5:6], v[7:8]
	v_fma_f64 v[9:10], v[9:10], -0.5, v[176:177]
	v_add_f64 v[176:177], v[1:2], -v[3:4]
	v_add_f64 v[3:4], v[29:30], v[3:4]
	v_add_f64 v[1:2], v[31:32], v[7:8]
	v_add_f64 v[29:30], v[5:6], -v[7:8]
	v_fma_f64 v[5:6], v[176:177], s[4:5], v[9:10]
	v_fma_f64 v[9:10], v[176:177], s[12:13], v[9:10]
	ds_write_b128 v42, v[1:4]
	v_add_f64 v[1:2], v[13:14], v[17:18]
	v_fma_f64 v[7:8], v[29:30], s[12:13], v[11:12]
	v_fma_f64 v[11:12], v[29:30], s[4:5], v[11:12]
	ds_write_b128 v42, v[5:8] offset:768
	ds_write_b128 v42, v[9:12] offset:1536
	v_fma_f64 v[29:30], v[1:2], -0.5, v[172:173]
	v_add_f64 v[1:2], v[15:16], v[19:20]
	v_add_f64 v[172:173], v[172:173], v[13:14]
	v_cndmask_b32_e64 v5, 0, 0x90, s0
	v_add_f64 v[9:10], v[140:141], v[34:35]
	v_add_nc_u32_e32 v5, v33, v5
	v_lshl_add_u32 v57, v5, 4, v53
	v_add_f64 v[5:6], v[34:35], v[38:39]
	v_add_f64 v[33:34], v[34:35], -v[38:39]
	buffer_store_dword v57, off, s[24:27], 0 offset:292 ; 4-byte Folded Spill
	v_fma_f64 v[31:32], v[1:2], -0.5, v[174:175]
	v_add_f64 v[1:2], v[174:175], v[15:16]
	v_add_f64 v[15:16], v[15:16], -v[19:20]
	v_fma_f64 v[11:12], v[5:6], -0.5, v[140:141]
	v_add_f64 v[5:6], v[36:37], v[43:44]
	v_add_f64 v[3:4], v[1:2], v[19:20]
	v_add_f64 v[19:20], v[13:14], -v[17:18]
	v_add_f64 v[1:2], v[172:173], v[17:18]
	v_fma_f64 v[13:14], v[15:16], s[4:5], v[29:30]
	v_fma_f64 v[17:18], v[15:16], s[12:13], v[29:30]
	v_add_f64 v[29:30], v[25:26], v[27:28]
	v_add_f64 v[172:173], v[21:22], -v[23:24]
	v_fma_f64 v[15:16], v[19:20], s[12:13], v[31:32]
	v_fma_f64 v[19:20], v[19:20], s[4:5], v[31:32]
	v_add_f64 v[31:32], v[21:22], v[23:24]
	v_fma_f64 v[29:30], v[29:30], -0.5, v[144:145]
	v_add_f64 v[144:145], v[144:145], v[25:26]
	v_fma_f64 v[31:32], v[31:32], -0.5, v[146:147]
	v_add_f64 v[146:147], v[146:147], v[21:22]
	v_add_f64 v[21:22], v[144:145], v[27:28]
	v_add_f64 v[144:145], v[25:26], -v[27:28]
	v_fma_f64 v[25:26], v[172:173], s[4:5], v[29:30]
	v_fma_f64 v[29:30], v[172:173], s[12:13], v[29:30]
	v_add_f64 v[23:24], v[146:147], v[23:24]
	v_fma_f64 v[27:28], v[144:145], s[12:13], v[31:32]
	v_fma_f64 v[31:32], v[144:145], s[4:5], v[31:32]
	ds_write_b128 v57, v[21:24]
	v_fma_f64 v[23:24], v[5:6], -0.5, v[142:143]
	v_add_f64 v[5:6], v[142:143], v[36:37]
	v_add_f64 v[21:22], v[36:37], -v[43:44]
	v_add_f64 v[35:36], v[47:48], v[124:125]
	ds_write_b128 v57, v[25:28] offset:768
	ds_write_b128 v57, v[29:32] offset:1536
	;; [unrolled: 1-line block ×3, first 2 shown]
	v_lshl_add_u32 v1, v51, 4, v53
	v_add_co_u32 v32, s0, s2, v0
	buffer_store_dword v1, off, s[24:27], 0 offset:308 ; 4-byte Folded Spill
	ds_write_b128 v1, v[13:16] offset:3072
	ds_write_b128 v42, v[17:20] offset:3936
	v_mov_b32_e32 v1, 0x90
	v_mul_u32_u24_sdwa v1, v52, v1 dst_sel:DWORD dst_unused:UNUSED_PAD src0_sel:WORD_0 src1_sel:DWORD
	v_add_f64 v[7:8], v[5:6], v[43:44]
	v_add_f64 v[5:6], v[9:10], v[38:39]
	v_fma_f64 v[9:10], v[21:22], s[4:5], v[11:12]
	v_fma_f64 v[21:22], v[21:22], s[12:13], v[11:12]
	;; [unrolled: 1-line block ×4, first 2 shown]
	v_add_f64 v[33:34], v[45:46], v[49:50]
	v_add_f64 v[37:38], v[134:135], v[47:48]
	v_add_f64 v[47:48], v[47:48], -v[124:125]
	v_fma_f64 v[35:36], v[35:36], -0.5, v[134:135]
	v_add_f64 v[43:44], v[132:133], v[45:46]
	v_add_nc_u32_sdwa v1, v1, v54 dst_sel:DWORD dst_unused:UNUSED_PAD src0_sel:DWORD src1_sel:BYTE_0
	v_lshl_add_u32 v1, v1, 4, v53
	ds_write_b128 v1, v[5:8]
	ds_write_b128 v1, v[9:12] offset:768
	buffer_store_dword v1, off, s[24:27], 0 offset:304 ; 4-byte Folded Spill
	ds_write_b128 v1, v[21:24] offset:1536
	v_fma_f64 v[33:34], v[33:34], -0.5, v[132:133]
	v_add_f64 v[218:219], v[37:38], v[124:125]
	v_add_f64 v[37:38], v[45:46], -v[49:50]
	v_add_f64 v[45:46], v[136:137], v[126:127]
	v_add_f64 v[216:217], v[43:44], v[49:50]
	v_lshl_add_u32 v1, v56, 4, v53
	v_fma_f64 v[240:241], v[47:48], s[4:5], v[33:34]
	v_fma_f64 v[244:245], v[47:48], s[12:13], v[33:34]
	v_add_f64 v[33:34], v[126:127], v[130:131]
	v_fma_f64 v[242:243], v[37:38], s[12:13], v[35:36]
	v_fma_f64 v[246:247], v[37:38], s[4:5], v[35:36]
	v_add_f64 v[47:48], v[128:129], -v[200:201]
	v_fma_f64 v[37:38], v[33:34], -0.5, v[136:137]
	v_add_f64 v[33:34], v[128:129], v[200:201]
	v_fma_f64 v[124:125], v[47:48], s[4:5], v[37:38]
	v_fma_f64 v[43:44], v[33:34], -0.5, v[138:139]
	v_add_f64 v[33:34], v[138:139], v[128:129]
	v_fma_f64 v[128:129], v[47:48], s[12:13], v[37:38]
	v_add_f64 v[35:36], v[33:34], v[200:201]
	v_add_f64 v[33:34], v[45:46], v[130:131]
	v_add_f64 v[45:46], v[126:127], -v[130:131]
	v_fma_f64 v[130:131], v[45:46], s[4:5], v[43:44]
	v_fma_f64 v[126:127], v[45:46], s[12:13], v[43:44]
	ds_write_b128 v1, v[33:36] offset:4608
	ds_write_b128 v1, v[124:127] offset:5376
	buffer_store_dword v1, off, s[24:27], 0 offset:296 ; 4-byte Folded Spill
	ds_write_b128 v1, v[128:131] offset:6144
	v_and_b32_e32 v1, 0xff, v55
	v_add_co_ci_u32_e64 v33, null, s3, 0, s0
	buffer_store_dword v1, off, s[24:27], 0 offset:300 ; 4-byte Folded Spill
	s_and_saveexec_b32 s0, vcc_lo
	s_cbranch_execz .LBB0_11
; %bb.10:
	buffer_load_dword v0, off, s[24:27], 0 offset:300 ; 4-byte Folded Reload
	s_waitcnt vmcnt(0)
	v_lshl_add_u32 v0, v0, 4, v53
	ds_write_b128 v0, v[216:219] offset:4608
	ds_write_b128 v0, v[240:243] offset:5376
	;; [unrolled: 1-line block ×3, first 2 shown]
.LBB0_11:
	s_or_b32 exec_lo, exec_lo, s0
	s_waitcnt lgkmcnt(0)
	s_waitcnt_vscnt null, 0x0
	s_barrier
	buffer_gl0_inv
	ds_read_b128 v[236:239], v42
	ds_read_b128 v[232:235], v42 offset:432
	ds_read_b128 v[24:27], v42 offset:4608
	;; [unrolled: 1-line block ×14, first 2 shown]
	s_and_saveexec_b32 s0, vcc_lo
	s_cbranch_execz .LBB0_13
; %bb.12:
	ds_read_b128 v[216:219], v42 offset:2160
	ds_read_b128 v[240:243], v42 offset:4464
	;; [unrolled: 1-line block ×3, first 2 shown]
.LBB0_13:
	s_or_b32 exec_lo, exec_lo, s0
	v_add_co_u32 v34, s0, 0x800, v32
	v_add_co_ci_u32_e64 v35, s0, 0, v33, s0
	v_add_co_u32 v32, s0, 0x8d0, v32
	v_add_co_ci_u32_e64 v33, s0, 0, v33, s0
	s_clause 0x1
	global_load_dwordx4 v[124:127], v[34:35], off offset:208
	global_load_dwordx4 v[128:131], v[32:33], off offset:16
	s_waitcnt vmcnt(1) lgkmcnt(4)
	v_mul_f64 v[32:33], v[30:31], v[126:127]
	v_fma_f64 v[32:33], v[28:29], v[124:125], -v[32:33]
	v_mul_f64 v[28:29], v[28:29], v[126:127]
	v_fma_f64 v[28:29], v[30:31], v[124:125], v[28:29]
	s_waitcnt vmcnt(0)
	v_mul_f64 v[30:31], v[26:27], v[130:131]
	v_fma_f64 v[30:31], v[24:25], v[128:129], -v[30:31]
	v_mul_f64 v[24:25], v[24:25], v[130:131]
	v_fma_f64 v[24:25], v[26:27], v[128:129], v[24:25]
	v_lshlrev_b32_e32 v26, 5, v211
	v_add_co_u32 v34, s0, s2, v26
	v_add_co_ci_u32_e64 v35, null, s3, 0, s0
	v_add_co_u32 v26, s0, 0x800, v34
	v_add_co_ci_u32_e64 v27, s0, 0, v35, s0
	v_add_co_u32 v34, s0, 0x8d0, v34
	v_add_co_ci_u32_e64 v35, s0, 0, v35, s0
	s_clause 0x1
	global_load_dwordx4 v[140:143], v[26:27], off offset:208
	global_load_dwordx4 v[144:147], v[34:35], off offset:16
	s_waitcnt vmcnt(1)
	v_mul_f64 v[26:27], v[22:23], v[142:143]
	v_fma_f64 v[26:27], v[20:21], v[140:141], -v[26:27]
	v_mul_f64 v[20:21], v[20:21], v[142:143]
	v_fma_f64 v[20:21], v[22:23], v[140:141], v[20:21]
	s_waitcnt vmcnt(0)
	v_mul_f64 v[22:23], v[18:19], v[146:147]
	v_fma_f64 v[22:23], v[16:17], v[144:145], -v[22:23]
	v_mul_f64 v[16:17], v[16:17], v[146:147]
	v_fma_f64 v[16:17], v[18:19], v[144:145], v[16:17]
	v_lshlrev_b32_e32 v18, 5, v210
	v_add_co_u32 v34, s0, s2, v18
	v_add_co_ci_u32_e64 v35, null, s3, 0, s0
	v_add_co_u32 v18, s0, 0x800, v34
	v_add_co_ci_u32_e64 v19, s0, 0, v35, s0
	v_add_co_u32 v34, s0, 0x8d0, v34
	v_add_co_ci_u32_e64 v35, s0, 0, v35, s0
	s_clause 0x1
	global_load_dwordx4 v[172:175], v[18:19], off offset:208
	global_load_dwordx4 v[176:179], v[34:35], off offset:16
	s_waitcnt vmcnt(1)
	v_mul_f64 v[18:19], v[10:11], v[174:175]
	v_fma_f64 v[34:35], v[8:9], v[172:173], -v[18:19]
	v_mul_f64 v[8:9], v[8:9], v[174:175]
	v_fma_f64 v[36:37], v[10:11], v[172:173], v[8:9]
	s_waitcnt vmcnt(0)
	v_mul_f64 v[8:9], v[14:15], v[178:179]
	v_fma_f64 v[38:39], v[12:13], v[176:177], -v[8:9]
	v_mul_f64 v[8:9], v[12:13], v[178:179]
	v_add_f64 v[12:13], v[32:33], -v[30:31]
	v_fma_f64 v[43:44], v[14:15], v[176:177], v[8:9]
	v_lshlrev_b32_e32 v8, 5, v209
	v_add_co_u32 v10, s0, s2, v8
	v_add_co_ci_u32_e64 v11, null, s3, 0, s0
	v_add_co_u32 v8, s0, 0x800, v10
	v_add_co_ci_u32_e64 v9, s0, 0, v11, s0
	v_add_co_u32 v10, s0, 0x8d0, v10
	v_add_co_ci_u32_e64 v11, s0, 0, v11, s0
	s_clause 0x1
	global_load_dwordx4 v[204:207], v[8:9], off offset:208
	global_load_dwordx4 v[200:203], v[10:11], off offset:16
	s_waitcnt vmcnt(1) lgkmcnt(2)
	v_mul_f64 v[8:9], v[138:139], v[206:207]
	v_fma_f64 v[45:46], v[136:137], v[204:205], -v[8:9]
	v_mul_f64 v[8:9], v[136:137], v[206:207]
	v_fma_f64 v[47:48], v[138:139], v[204:205], v[8:9]
	s_waitcnt vmcnt(0)
	v_mul_f64 v[8:9], v[134:135], v[202:203]
	v_fma_f64 v[49:50], v[132:133], v[200:201], -v[8:9]
	v_mul_f64 v[8:9], v[132:133], v[202:203]
	v_fma_f64 v[253:254], v[134:135], v[200:201], v[8:9]
	v_lshlrev_b32_e32 v8, 5, v208
	v_add_co_u32 v10, s0, s2, v8
	v_add_co_ci_u32_e64 v11, null, s3, 0, s0
	v_add_co_u32 v8, s0, 0x800, v10
	v_add_co_ci_u32_e64 v9, s0, 0, v11, s0
	v_add_co_u32 v10, s0, 0x8d0, v10
	v_add_co_ci_u32_e64 v11, s0, 0, v11, s0
	s_clause 0x1
	global_load_dwordx4 v[208:211], v[8:9], off offset:208
	global_load_dwordx4 v[212:215], v[10:11], off offset:16
	s_waitcnt vmcnt(1) lgkmcnt(1)
	v_mul_f64 v[8:9], v[6:7], v[210:211]
	v_fma_f64 v[248:249], v[4:5], v[208:209], -v[8:9]
	v_mul_f64 v[4:5], v[4:5], v[210:211]
	v_add_f64 v[8:9], v[28:29], -v[24:25]
	v_fma_f64 v[51:52], v[6:7], v[208:209], v[4:5]
	s_waitcnt vmcnt(0) lgkmcnt(0)
	v_mul_f64 v[4:5], v[2:3], v[214:215]
	v_fma_f64 v[54:55], v[0:1], v[212:213], -v[4:5]
	v_mul_f64 v[0:1], v[0:1], v[214:215]
	v_fma_f64 v[56:57], v[2:3], v[212:213], v[0:1]
	v_add_co_u32 v0, s0, v40, -9
	v_add_co_ci_u32_e64 v1, null, 0, -1, s0
	v_cndmask_b32_e32 v0, v0, v251, vcc_lo
	v_cndmask_b32_e32 v1, v1, v252, vcc_lo
	v_lshlrev_b64 v[0:1], 5, v[0:1]
	v_add_co_u32 v2, s0, s2, v0
	v_add_co_ci_u32_e64 v3, s0, s3, v1, s0
	s_mov_b32 s3, 0xbfebb67a
	v_add_co_u32 v0, s0, 0x800, v2
	v_add_co_ci_u32_e64 v1, s0, 0, v3, s0
	v_add_co_u32 v2, s0, 0x8d0, v2
	v_add_co_ci_u32_e64 v3, s0, 0, v3, s0
	s_clause 0x1
	global_load_dwordx4 v[4:7], v[0:1], off offset:208
	global_load_dwordx4 v[136:139], v[2:3], off offset:16
	s_mov_b32 s0, 0xe8584caa
	s_mov_b32 s1, 0x3febb67a
	;; [unrolled: 1-line block ×3, first 2 shown]
	s_waitcnt vmcnt(1)
	v_mul_f64 v[0:1], v[242:243], v[6:7]
	v_fma_f64 v[58:59], v[240:241], v[4:5], -v[0:1]
	v_mul_f64 v[0:1], v[240:241], v[6:7]
	buffer_store_dword v4, off, s[24:27], 0 offset:320 ; 4-byte Folded Spill
	buffer_store_dword v5, off, s[24:27], 0 offset:324 ; 4-byte Folded Spill
	;; [unrolled: 1-line block ×4, first 2 shown]
	v_fma_f64 v[251:252], v[242:243], v[4:5], v[0:1]
	s_waitcnt vmcnt(0)
	v_mul_f64 v[0:1], v[246:247], v[138:139]
	v_add_f64 v[4:5], v[236:237], v[32:33]
	v_fma_f64 v[132:133], v[244:245], v[136:137], -v[0:1]
	v_mul_f64 v[0:1], v[244:245], v[138:139]
	v_fma_f64 v[134:135], v[246:247], v[136:137], v[0:1]
	v_add_f64 v[0:1], v[32:33], v[30:31]
	v_add_f64 v[32:33], v[36:37], -v[43:44]
	v_fma_f64 v[6:7], v[0:1], -0.5, v[236:237]
	v_add_f64 v[0:1], v[28:29], v[24:25]
	v_fma_f64 v[10:11], v[0:1], -0.5, v[238:239]
	v_add_f64 v[0:1], v[238:239], v[28:29]
	v_add_f64 v[28:29], v[232:233], v[26:27]
	;; [unrolled: 1-line block ×4, first 2 shown]
	v_fma_f64 v[4:5], v[8:9], s[0:1], v[6:7]
	v_fma_f64 v[8:9], v[8:9], s[2:3], v[6:7]
	;; [unrolled: 1-line block ×4, first 2 shown]
	v_add_f64 v[12:13], v[26:27], v[22:23]
	v_fma_f64 v[18:19], v[12:13], -0.5, v[232:233]
	v_add_f64 v[12:13], v[20:21], v[16:17]
	v_fma_f64 v[24:25], v[12:13], -0.5, v[234:235]
	v_add_f64 v[12:13], v[234:235], v[20:21]
	v_add_f64 v[20:21], v[20:21], -v[16:17]
	v_add_f64 v[14:15], v[12:13], v[16:17]
	v_add_f64 v[12:13], v[28:29], v[22:23]
	v_add_f64 v[22:23], v[26:27], -v[22:23]
	v_fma_f64 v[16:17], v[20:21], s[0:1], v[18:19]
	v_fma_f64 v[20:21], v[20:21], s[2:3], v[18:19]
	v_add_f64 v[28:29], v[228:229], v[34:35]
	v_fma_f64 v[18:19], v[22:23], s[2:3], v[24:25]
	v_fma_f64 v[22:23], v[22:23], s[0:1], v[24:25]
	v_add_f64 v[24:25], v[34:35], v[38:39]
	v_add_f64 v[34:35], v[34:35], -v[38:39]
	v_fma_f64 v[30:31], v[24:25], -0.5, v[228:229]
	v_add_f64 v[24:25], v[36:37], v[43:44]
	v_fma_f64 v[232:233], v[24:25], -0.5, v[230:231]
	v_add_f64 v[24:25], v[230:231], v[36:37]
	v_add_f64 v[36:37], v[45:46], v[49:50]
	;; [unrolled: 1-line block ×3, first 2 shown]
	v_fma_f64 v[43:44], v[36:37], -0.5, v[224:225]
	v_add_f64 v[36:37], v[47:48], v[253:254]
	v_add_f64 v[224:225], v[224:225], v[45:46]
	v_add_f64 v[45:46], v[45:46], -v[49:50]
	v_add_f64 v[24:25], v[28:29], v[38:39]
	v_fma_f64 v[28:29], v[32:33], s[0:1], v[30:31]
	v_fma_f64 v[32:33], v[32:33], s[2:3], v[30:31]
	;; [unrolled: 1-line block ×4, first 2 shown]
	v_fma_f64 v[234:235], v[36:37], -0.5, v[226:227]
	v_add_f64 v[36:37], v[226:227], v[47:48]
	v_add_f64 v[47:48], v[47:48], -v[253:254]
	v_fma_f64 v[230:231], v[45:46], s[2:3], v[234:235]
	v_add_f64 v[38:39], v[36:37], v[253:254]
	v_add_f64 v[36:37], v[224:225], v[49:50]
	v_fma_f64 v[228:229], v[47:48], s[0:1], v[43:44]
	v_fma_f64 v[232:233], v[47:48], s[2:3], v[43:44]
	;; [unrolled: 1-line block ×3, first 2 shown]
	ds_write_b128 v42, v[0:3]
	ds_write_b128 v42, v[12:15] offset:432
	ds_write_b128 v42, v[24:27] offset:864
	;; [unrolled: 1-line block ×11, first 2 shown]
	buffer_load_dword v0, off, s[24:27], 0 offset:312 ; 4-byte Folded Reload
	v_add_f64 v[43:44], v[248:249], v[54:55]
	v_add_f64 v[45:46], v[51:52], v[56:57]
	v_add_f64 v[47:48], v[222:223], v[51:52]
	v_add_f64 v[51:52], v[51:52], -v[56:57]
	v_add_f64 v[49:50], v[220:221], v[248:249]
	v_fma_f64 v[43:44], v[43:44], -0.5, v[220:221]
	v_fma_f64 v[45:46], v[45:46], -0.5, v[222:223]
	v_add_f64 v[238:239], v[47:48], v[56:57]
	v_add_f64 v[47:48], v[248:249], -v[54:55]
	v_add_f64 v[236:237], v[49:50], v[54:55]
	v_add_f64 v[49:50], v[216:217], v[58:59]
	v_fma_f64 v[240:241], v[51:52], s[0:1], v[43:44]
	v_fma_f64 v[244:245], v[51:52], s[2:3], v[43:44]
	v_add_f64 v[43:44], v[58:59], v[132:133]
	v_fma_f64 v[242:243], v[47:48], s[2:3], v[45:46]
	v_fma_f64 v[246:247], v[47:48], s[0:1], v[45:46]
	v_add_f64 v[45:46], v[251:252], v[134:135]
	v_add_f64 v[47:48], v[218:219], v[251:252]
	v_add_f64 v[51:52], v[251:252], -v[134:135]
	v_fma_f64 v[43:44], v[43:44], -0.5, v[216:217]
	v_add_f64 v[216:217], v[49:50], v[132:133]
	v_fma_f64 v[45:46], v[45:46], -0.5, v[218:219]
	v_add_f64 v[218:219], v[47:48], v[134:135]
	v_add_f64 v[47:48], v[58:59], -v[132:133]
	v_fma_f64 v[220:221], v[51:52], s[0:1], v[43:44]
	v_fma_f64 v[224:225], v[51:52], s[2:3], v[43:44]
	;; [unrolled: 1-line block ×4, first 2 shown]
	s_waitcnt vmcnt(0)
	v_lshl_add_u32 v132, v0, 4, v250
	ds_write_b128 v42, v[236:239] offset:1728
	ds_write_b128 v132, v[240:243] offset:4032
	;; [unrolled: 1-line block ×3, first 2 shown]
	s_and_saveexec_b32 s0, vcc_lo
	s_cbranch_execz .LBB0_15
; %bb.14:
	ds_write_b128 v42, v[216:219] offset:2160
	ds_write_b128 v42, v[220:223] offset:4464
	;; [unrolled: 1-line block ×3, first 2 shown]
.LBB0_15:
	s_or_b32 exec_lo, exec_lo, s0
	s_add_u32 s0, s16, 0x1b00
	s_addc_u32 s1, s17, 0
	s_waitcnt lgkmcnt(0)
	s_waitcnt_vscnt null, 0x0
	s_barrier
	buffer_gl0_inv
	global_load_dwordx4 v[4:7], v255, s[0:1]
	v_lshlrev_b32_e32 v0, 4, v40
	s_clause 0x4
	global_load_dwordx4 v[8:11], v0, s[0:1]
	global_load_dwordx4 v[12:15], v0, s[0:1] offset:432
	global_load_dwordx4 v[16:19], v0, s[0:1] offset:864
	global_load_dwordx4 v[20:23], v0, s[0:1] offset:1296
	global_load_dwordx4 v[24:27], v0, s[0:1] offset:1728
	v_add_co_u32 v49, s0, s0, v0
	v_add_co_ci_u32_e64 v50, null, s1, 0, s0
	v_add_co_u32 v2, s0, 0x800, v49
	v_add_co_ci_u32_e64 v3, s0, 0, v50, s0
	s_clause 0x1
	global_load_dwordx4 v[28:31], v[2:3], off offset:256
	global_load_dwordx4 v[32:35], v[2:3], off offset:688
	v_add_co_u32 v0, s0, 0x1000, v49
	v_add_co_ci_u32_e64 v1, s0, 0, v50, s0
	global_load_dwordx4 v[36:39], v[0:1], off offset:944
	ds_read_b128 v[228:231], v42 offset:4608
	ds_read_b128 v[232:235], v42
	ds_read_b128 v[236:239], v42 offset:432
	ds_read_b128 v[240:243], v42 offset:5040
	;; [unrolled: 1-line block ×3, first 2 shown]
	s_waitcnt vmcnt(8) lgkmcnt(4)
	v_mul_f64 v[43:44], v[230:231], v[6:7]
	v_mul_f64 v[6:7], v[228:229], v[6:7]
	s_waitcnt vmcnt(7) lgkmcnt(3)
	v_mul_f64 v[45:46], v[234:235], v[10:11]
	v_mul_f64 v[10:11], v[232:233], v[10:11]
	;; [unrolled: 3-line block ×3, first 2 shown]
	v_fma_f64 v[228:229], v[228:229], v[4:5], -v[43:44]
	v_fma_f64 v[230:231], v[230:231], v[4:5], v[6:7]
	ds_read_b128 v[4:7], v42 offset:1296
	s_waitcnt vmcnt(5) lgkmcnt(1)
	v_mul_f64 v[43:44], v[246:247], v[18:19]
	v_mul_f64 v[18:19], v[244:245], v[18:19]
	v_fma_f64 v[232:233], v[232:233], v[8:9], -v[45:46]
	v_fma_f64 v[234:235], v[234:235], v[8:9], v[10:11]
	global_load_dwordx4 v[8:11], v[2:3], off offset:1120
	v_fma_f64 v[236:237], v[236:237], v[12:13], -v[47:48]
	v_fma_f64 v[238:239], v[238:239], v[12:13], v[14:15]
	ds_read_b128 v[12:15], v42 offset:1728
	ds_read_b128 v[248:251], v42 offset:2304
	s_waitcnt vmcnt(5) lgkmcnt(2)
	v_mul_f64 v[45:46], v[6:7], v[22:23]
	v_fma_f64 v[244:245], v[244:245], v[16:17], -v[43:44]
	v_fma_f64 v[246:247], v[246:247], v[16:17], v[18:19]
	v_mul_f64 v[18:19], v[4:5], v[22:23]
	s_waitcnt vmcnt(4) lgkmcnt(1)
	v_mul_f64 v[22:23], v[14:15], v[26:27]
	v_mul_f64 v[26:27], v[12:13], v[26:27]
	s_waitcnt vmcnt(3) lgkmcnt(0)
	v_mul_f64 v[43:44], v[250:251], v[30:31]
	v_mul_f64 v[30:31], v[248:249], v[30:31]
	v_fma_f64 v[16:17], v[4:5], v[20:21], -v[45:46]
	v_fma_f64 v[18:19], v[6:7], v[20:21], v[18:19]
	ds_read_b128 v[4:7], v42 offset:2736
	v_fma_f64 v[12:13], v[12:13], v[24:25], -v[22:23]
	global_load_dwordx4 v[20:23], v[0:1], off offset:1376
	v_fma_f64 v[14:15], v[14:15], v[24:25], v[26:27]
	ds_read_b128 v[24:27], v42 offset:3168
	v_fma_f64 v[248:249], v[248:249], v[28:29], -v[43:44]
	v_fma_f64 v[250:251], v[250:251], v[28:29], v[30:31]
	global_load_dwordx4 v[28:31], v[2:3], off offset:1552
	s_waitcnt vmcnt(4) lgkmcnt(1)
	v_mul_f64 v[45:46], v[6:7], v[34:35]
	v_mul_f64 v[34:35], v[4:5], v[34:35]
	v_fma_f64 v[252:253], v[4:5], v[32:33], -v[45:46]
	v_fma_f64 v[254:255], v[6:7], v[32:33], v[34:35]
	global_load_dwordx4 v[32:35], v[2:3], off offset:1984
	s_waitcnt vmcnt(4)
	v_mul_f64 v[4:5], v[242:243], v[38:39]
	v_mul_f64 v[6:7], v[240:241], v[38:39]
	v_fma_f64 v[240:241], v[240:241], v[36:37], -v[4:5]
	v_fma_f64 v[242:243], v[242:243], v[36:37], v[6:7]
	global_load_dwordx4 v[4:7], v[0:1], off offset:1808
	s_waitcnt vmcnt(4) lgkmcnt(0)
	v_mul_f64 v[36:37], v[26:27], v[10:11]
	v_mul_f64 v[10:11], v[24:25], v[10:11]
	v_fma_f64 v[24:25], v[24:25], v[8:9], -v[36:37]
	v_fma_f64 v[26:27], v[26:27], v[8:9], v[10:11]
	ds_read_b128 v[8:11], v42 offset:5472
	ds_read_b128 v[36:39], v42 offset:5904
	s_waitcnt vmcnt(3) lgkmcnt(1)
	v_mul_f64 v[43:44], v[10:11], v[22:23]
	v_mul_f64 v[22:23], v[8:9], v[22:23]
	v_fma_f64 v[8:9], v[8:9], v[20:21], -v[43:44]
	v_fma_f64 v[10:11], v[10:11], v[20:21], v[22:23]
	ds_read_b128 v[20:23], v42 offset:3600
	ds_read_b128 v[43:46], v42 offset:4032
	s_waitcnt vmcnt(2) lgkmcnt(1)
	v_mul_f64 v[47:48], v[22:23], v[30:31]
	v_mul_f64 v[30:31], v[20:21], v[30:31]
	v_fma_f64 v[20:21], v[20:21], v[28:29], -v[47:48]
	v_fma_f64 v[22:23], v[22:23], v[28:29], v[30:31]
	s_waitcnt vmcnt(0)
	v_mul_f64 v[28:29], v[38:39], v[6:7]
	v_mul_f64 v[6:7], v[36:37], v[6:7]
	v_fma_f64 v[28:29], v[36:37], v[4:5], -v[28:29]
	v_fma_f64 v[30:31], v[38:39], v[4:5], v[6:7]
	s_waitcnt lgkmcnt(0)
	v_mul_f64 v[6:7], v[45:46], v[34:35]
	v_mul_f64 v[36:37], v[43:44], v[34:35]
	v_add_co_u32 v4, s0, 0x1800, v49
	v_add_co_ci_u32_e64 v5, s0, 0, v50, s0
	ds_read_b128 v[47:50], v42 offset:6336
	v_fma_f64 v[34:35], v[43:44], v[32:33], -v[6:7]
	v_fma_f64 v[36:37], v[45:46], v[32:33], v[36:37]
	global_load_dwordx4 v[43:46], v[4:5], off offset:192
	s_waitcnt vmcnt(0) lgkmcnt(0)
	v_mul_f64 v[6:7], v[49:50], v[45:46]
	v_mul_f64 v[32:33], v[47:48], v[45:46]
	v_fma_f64 v[45:46], v[47:48], v[43:44], -v[6:7]
	v_fma_f64 v[47:48], v[49:50], v[43:44], v[32:33]
	ds_write_b128 v42, v[228:231] offset:4608
	ds_write_b128 v42, v[232:235]
	ds_write_b128 v42, v[236:239] offset:432
	ds_write_b128 v42, v[244:247] offset:864
	;; [unrolled: 1-line block ×13, first 2 shown]
	s_and_saveexec_b32 s0, vcc_lo
	s_cbranch_execz .LBB0_17
; %bb.16:
	s_clause 0x2
	global_load_dwordx4 v[6:9], v[2:3], off offset:112
	global_load_dwordx4 v[0:3], v[0:1], off offset:368
	;; [unrolled: 1-line block ×3, first 2 shown]
	ds_read_b128 v[14:17], v42 offset:2160
	ds_read_b128 v[18:21], v42 offset:4464
	ds_read_b128 v[22:25], v42 offset:6768
	s_waitcnt vmcnt(2) lgkmcnt(2)
	v_mul_f64 v[4:5], v[16:17], v[8:9]
	v_mul_f64 v[8:9], v[14:15], v[8:9]
	s_waitcnt vmcnt(1) lgkmcnt(1)
	v_mul_f64 v[26:27], v[20:21], v[2:3]
	v_mul_f64 v[28:29], v[18:19], v[2:3]
	;; [unrolled: 3-line block ×3, first 2 shown]
	v_fma_f64 v[2:3], v[14:15], v[6:7], -v[4:5]
	v_fma_f64 v[4:5], v[16:17], v[6:7], v[8:9]
	v_fma_f64 v[6:7], v[18:19], v[0:1], -v[26:27]
	v_fma_f64 v[8:9], v[20:21], v[0:1], v[28:29]
	;; [unrolled: 2-line block ×3, first 2 shown]
	ds_write_b128 v42, v[2:5] offset:2160
	ds_write_b128 v42, v[6:9] offset:4464
	;; [unrolled: 1-line block ×3, first 2 shown]
.LBB0_17:
	s_or_b32 exec_lo, exec_lo, s0
	s_waitcnt lgkmcnt(0)
	s_barrier
	buffer_gl0_inv
	ds_read_b128 v[236:239], v42
	ds_read_b128 v[20:23], v42 offset:432
	ds_read_b128 v[32:35], v42 offset:4608
	ds_read_b128 v[24:27], v42 offset:5040
	ds_read_b128 v[28:31], v42 offset:2736
	ds_read_b128 v[8:11], v42 offset:3168
	ds_read_b128 v[12:15], v42 offset:864
	ds_read_b128 v[252:255], v42 offset:1296
	ds_read_b128 v[16:19], v42 offset:5472
	ds_read_b128 v[0:3], v42 offset:5904
	ds_read_b128 v[36:39], v42 offset:2304
	ds_read_b128 v[248:251], v42 offset:1728
	ds_read_b128 v[4:7], v42 offset:3600
	ds_read_b128 v[228:231], v42 offset:4032
	ds_read_b128 v[232:235], v42 offset:6336
	s_and_saveexec_b32 s0, vcc_lo
	s_cbranch_execz .LBB0_19
; %bb.18:
	ds_read_b128 v[216:219], v42 offset:2160
	ds_read_b128 v[220:223], v42 offset:4464
	;; [unrolled: 1-line block ×3, first 2 shown]
.LBB0_19:
	s_or_b32 exec_lo, exec_lo, s0
	s_waitcnt lgkmcnt(4)
	v_add_f64 v[43:44], v[236:237], v[36:37]
	v_add_f64 v[45:46], v[38:39], -v[34:35]
	s_mov_b32 s0, 0xe8584caa
	s_mov_b32 s1, 0xbfebb67a
	;; [unrolled: 1-line block ×4, first 2 shown]
	s_waitcnt lgkmcnt(0)
	v_add_f64 v[51:52], v[228:229], -v[232:233]
	v_add_f64 v[54:55], v[222:223], -v[226:227]
	s_barrier
	buffer_gl0_inv
	v_add_f64 v[244:245], v[43:44], v[32:33]
	v_add_f64 v[43:44], v[36:37], v[32:33]
	v_add_f64 v[32:33], v[36:37], -v[32:33]
	v_add_f64 v[36:37], v[30:31], -v[26:27]
	v_fma_f64 v[43:44], v[43:44], -0.5, v[236:237]
	v_fma_f64 v[240:241], v[45:46], s[0:1], v[43:44]
	v_fma_f64 v[236:237], v[45:46], s[2:3], v[43:44]
	v_add_f64 v[43:44], v[238:239], v[38:39]
	v_add_f64 v[246:247], v[43:44], v[34:35]
	;; [unrolled: 1-line block ×3, first 2 shown]
	v_fma_f64 v[34:35], v[34:35], -0.5, v[238:239]
	v_fma_f64 v[242:243], v[32:33], s[2:3], v[34:35]
	v_fma_f64 v[238:239], v[32:33], s[0:1], v[34:35]
	v_add_f64 v[34:35], v[28:29], v[24:25]
	v_add_f64 v[32:33], v[20:21], v[28:29]
	v_fma_f64 v[34:35], v[34:35], -0.5, v[20:21]
	v_add_f64 v[32:33], v[32:33], v[24:25]
	v_add_f64 v[24:25], v[28:29], -v[24:25]
	v_add_f64 v[28:29], v[10:11], -v[18:19]
	v_fma_f64 v[20:21], v[36:37], s[0:1], v[34:35]
	v_fma_f64 v[36:37], v[36:37], s[2:3], v[34:35]
	v_add_f64 v[34:35], v[22:23], v[30:31]
	v_add_f64 v[34:35], v[34:35], v[26:27]
	;; [unrolled: 1-line block ×3, first 2 shown]
	v_fma_f64 v[26:27], v[26:27], -0.5, v[22:23]
	v_fma_f64 v[22:23], v[24:25], s[2:3], v[26:27]
	v_fma_f64 v[38:39], v[24:25], s[0:1], v[26:27]
	v_add_f64 v[26:27], v[8:9], v[16:17]
	v_add_f64 v[24:25], v[12:13], v[8:9]
	v_add_f64 v[8:9], v[8:9], -v[16:17]
	v_fma_f64 v[26:27], v[26:27], -0.5, v[12:13]
	v_add_f64 v[24:25], v[24:25], v[16:17]
	v_fma_f64 v[12:13], v[28:29], s[0:1], v[26:27]
	v_fma_f64 v[28:29], v[28:29], s[2:3], v[26:27]
	v_add_f64 v[26:27], v[14:15], v[10:11]
	v_add_f64 v[10:11], v[10:11], v[18:19]
	v_add_f64 v[26:27], v[26:27], v[18:19]
	v_fma_f64 v[10:11], v[10:11], -0.5, v[14:15]
	v_add_f64 v[18:19], v[6:7], -v[2:3]
	v_fma_f64 v[14:15], v[8:9], s[2:3], v[10:11]
	v_fma_f64 v[30:31], v[8:9], s[0:1], v[10:11]
	v_add_f64 v[10:11], v[4:5], v[0:1]
	v_add_f64 v[8:9], v[252:253], v[4:5]
	v_fma_f64 v[10:11], v[10:11], -0.5, v[252:253]
	v_add_f64 v[8:9], v[8:9], v[0:1]
	v_add_f64 v[0:1], v[4:5], -v[0:1]
	v_fma_f64 v[16:17], v[18:19], s[0:1], v[10:11]
	v_fma_f64 v[43:44], v[18:19], s[2:3], v[10:11]
	v_add_f64 v[10:11], v[254:255], v[6:7]
	v_add_f64 v[10:11], v[10:11], v[2:3]
	;; [unrolled: 1-line block ×3, first 2 shown]
	v_add_f64 v[6:7], v[230:231], -v[234:235]
	v_fma_f64 v[2:3], v[2:3], -0.5, v[254:255]
	v_fma_f64 v[18:19], v[0:1], s[2:3], v[2:3]
	v_fma_f64 v[45:46], v[0:1], s[0:1], v[2:3]
	v_add_f64 v[2:3], v[228:229], v[232:233]
	v_add_f64 v[0:1], v[248:249], v[228:229]
	v_fma_f64 v[2:3], v[2:3], -0.5, v[248:249]
	v_add_f64 v[0:1], v[0:1], v[232:233]
	v_fma_f64 v[4:5], v[6:7], s[0:1], v[2:3]
	v_fma_f64 v[47:48], v[6:7], s[2:3], v[2:3]
	v_add_f64 v[6:7], v[230:231], v[234:235]
	v_add_f64 v[2:3], v[250:251], v[230:231]
	v_fma_f64 v[49:50], v[6:7], -0.5, v[250:251]
	v_add_f64 v[2:3], v[2:3], v[234:235]
	v_fma_f64 v[6:7], v[51:52], s[2:3], v[49:50]
	v_fma_f64 v[49:50], v[51:52], s[0:1], v[49:50]
	v_add_f64 v[51:52], v[220:221], v[224:225]
	v_fma_f64 v[51:52], v[51:52], -0.5, v[216:217]
	v_fma_f64 v[228:229], v[54:55], s[0:1], v[51:52]
	v_fma_f64 v[232:233], v[54:55], s[2:3], v[51:52]
	v_add_f64 v[51:52], v[222:223], v[226:227]
	v_add_f64 v[54:55], v[220:221], -v[224:225]
	v_fma_f64 v[51:52], v[51:52], -0.5, v[218:219]
	v_fma_f64 v[230:231], v[54:55], s[2:3], v[51:52]
	v_fma_f64 v[234:235], v[54:55], s[0:1], v[51:52]
	buffer_load_dword v51, off, s[24:27], 0 offset:288 ; 4-byte Folded Reload
	s_waitcnt vmcnt(0)
	ds_write_b128 v51, v[244:247]
	ds_write_b128 v51, v[240:243] offset:16
	ds_write_b128 v51, v[236:239] offset:32
	buffer_load_dword v51, off, s[24:27], 0 offset:272 ; 4-byte Folded Reload
	s_waitcnt vmcnt(0)
	ds_write_b128 v51, v[32:35]
	ds_write_b128 v51, v[20:23] offset:16
	ds_write_b128 v51, v[36:39] offset:32
	;; [unrolled: 5-line block ×5, first 2 shown]
	s_and_saveexec_b32 s0, vcc_lo
	s_cbranch_execz .LBB0_21
; %bb.20:
	v_add_f64 v[0:1], v[218:219], v[222:223]
	v_add_f64 v[4:5], v[216:217], v[220:221]
	;; [unrolled: 1-line block ×4, first 2 shown]
	buffer_load_dword v4, off, s[24:27], 0 offset:316 ; 4-byte Folded Reload
	s_waitcnt vmcnt(0)
	v_lshl_add_u32 v4, v4, 4, v53
	ds_write_b128 v4, v[228:231] offset:16
	ds_write_b128 v4, v[0:3]
	ds_write_b128 v4, v[232:235] offset:32
.LBB0_21:
	s_or_b32 exec_lo, exec_lo, s0
	s_waitcnt lgkmcnt(0)
	s_barrier
	buffer_gl0_inv
	ds_read_b128 v[0:3], v42 offset:432
	ds_read_b128 v[4:7], v42
	s_mov_b32 s0, 0x667f3bcd
	s_mov_b32 s1, 0xbfe6a09e
	;; [unrolled: 1-line block ×12, first 2 shown]
	s_waitcnt lgkmcnt(1)
	v_mul_f64 v[8:9], v[74:75], v[2:3]
	v_mul_f64 v[10:11], v[74:75], v[0:1]
	v_fma_f64 v[28:29], v[72:73], v[0:1], v[8:9]
	v_fma_f64 v[30:31], v[72:73], v[2:3], -v[10:11]
	ds_read_b128 v[0:3], v42 offset:864
	ds_read_b128 v[8:11], v42 offset:1296
	s_waitcnt lgkmcnt(1)
	v_mul_f64 v[12:13], v[70:71], v[2:3]
	v_fma_f64 v[32:33], v[68:69], v[0:1], v[12:13]
	v_mul_f64 v[0:1], v[70:71], v[0:1]
	v_fma_f64 v[34:35], v[68:69], v[2:3], -v[0:1]
	ds_read_b128 v[0:3], v42 offset:1728
	ds_read_b128 v[12:15], v42 offset:2160
	s_waitcnt lgkmcnt(1)
	v_mul_f64 v[16:17], v[66:67], v[2:3]
	v_fma_f64 v[36:37], v[64:65], v[0:1], v[16:17]
	v_mul_f64 v[0:1], v[66:67], v[0:1]
	v_fma_f64 v[38:39], v[64:65], v[2:3], -v[0:1]
	s_waitcnt lgkmcnt(0)
	v_mul_f64 v[0:1], v[90:91], v[14:15]
	v_fma_f64 v[43:44], v[88:89], v[12:13], v[0:1]
	v_mul_f64 v[0:1], v[90:91], v[12:13]
	v_fma_f64 v[45:46], v[88:89], v[14:15], -v[0:1]
	ds_read_b128 v[0:3], v42 offset:2592
	ds_read_b128 v[12:15], v42 offset:3024
	s_waitcnt lgkmcnt(1)
	v_mul_f64 v[16:17], v[86:87], v[2:3]
	v_fma_f64 v[47:48], v[84:85], v[0:1], v[16:17]
	v_mul_f64 v[0:1], v[86:87], v[0:1]
	v_fma_f64 v[49:50], v[84:85], v[2:3], -v[0:1]
	ds_read_b128 v[0:3], v42 offset:3456
	ds_read_b128 v[16:19], v42 offset:3888
	;; [unrolled: 7-line block ×3, first 2 shown]
	s_waitcnt lgkmcnt(1)
	v_mul_f64 v[24:25], v[106:107], v[2:3]
	v_add_f64 v[54:55], v[6:7], -v[54:55]
	v_fma_f64 v[56:57], v[104:105], v[0:1], v[24:25]
	v_mul_f64 v[0:1], v[106:107], v[0:1]
	v_fma_f64 v[6:7], v[6:7], 2.0, -v[54:55]
	v_fma_f64 v[58:59], v[104:105], v[2:3], -v[0:1]
	ds_read_b128 v[0:3], v42 offset:6048
	ds_read_b128 v[24:27], v42 offset:6480
	s_waitcnt lgkmcnt(1)
	v_mul_f64 v[64:65], v[118:119], v[2:3]
	v_add_f64 v[58:59], v[38:39], -v[58:59]
	v_fma_f64 v[64:65], v[116:117], v[0:1], v[64:65]
	v_mul_f64 v[0:1], v[118:119], v[0:1]
	v_fma_f64 v[38:39], v[38:39], 2.0, -v[58:59]
	v_add_f64 v[64:65], v[47:48], -v[64:65]
	v_fma_f64 v[66:67], v[116:117], v[2:3], -v[0:1]
	v_mul_f64 v[0:1], v[98:99], v[18:19]
	v_add_f64 v[38:39], v[6:7], -v[38:39]
	v_fma_f64 v[47:48], v[47:48], 2.0, -v[64:65]
	v_fma_f64 v[68:69], v[96:97], v[16:17], v[0:1]
	v_mul_f64 v[0:1], v[98:99], v[16:17]
	v_fma_f64 v[16:17], v[96:97], v[18:19], -v[0:1]
	v_mul_f64 v[0:1], v[110:111], v[22:23]
	v_add_f64 v[16:17], v[30:31], -v[16:17]
	v_fma_f64 v[18:19], v[108:109], v[20:21], v[0:1]
	v_mul_f64 v[0:1], v[110:111], v[20:21]
	v_fma_f64 v[30:31], v[30:31], 2.0, -v[16:17]
	v_add_f64 v[18:19], v[43:44], -v[18:19]
	v_fma_f64 v[20:21], v[108:109], v[22:23], -v[0:1]
	v_mul_f64 v[0:1], v[62:63], v[10:11]
	v_fma_f64 v[43:44], v[43:44], 2.0, -v[18:19]
	v_add_f64 v[20:21], v[45:46], -v[20:21]
	v_fma_f64 v[22:23], v[60:61], v[8:9], v[0:1]
	v_mul_f64 v[0:1], v[62:63], v[8:9]
	v_add_f64 v[18:19], v[16:17], -v[18:19]
	v_fma_f64 v[45:46], v[45:46], 2.0, -v[20:21]
	v_fma_f64 v[8:9], v[60:61], v[10:11], -v[0:1]
	ds_read_b128 v[0:3], v42 offset:4752
	v_fma_f64 v[16:17], v[16:17], 2.0, -v[18:19]
	v_add_f64 v[45:46], v[30:31], -v[45:46]
	s_waitcnt lgkmcnt(0)
	v_mul_f64 v[10:11], v[102:103], v[2:3]
	v_fma_f64 v[30:31], v[30:31], 2.0, -v[45:46]
	v_fma_f64 v[10:11], v[100:101], v[0:1], v[10:11]
	v_mul_f64 v[0:1], v[102:103], v[0:1]
	v_add_f64 v[10:11], v[22:23], -v[10:11]
	v_fma_f64 v[60:61], v[100:101], v[2:3], -v[0:1]
	v_mul_f64 v[0:1], v[78:79], v[14:15]
	v_mul_f64 v[2:3], v[114:115], v[26:27]
	v_fma_f64 v[22:23], v[22:23], 2.0, -v[10:11]
	v_add_f64 v[60:61], v[8:9], -v[60:61]
	v_fma_f64 v[62:63], v[76:77], v[12:13], v[0:1]
	v_mul_f64 v[0:1], v[78:79], v[12:13]
	v_fma_f64 v[8:9], v[8:9], 2.0, -v[60:61]
	v_fma_f64 v[12:13], v[76:77], v[14:15], -v[0:1]
	v_mul_f64 v[0:1], v[114:115], v[24:25]
	v_fma_f64 v[24:25], v[112:113], v[24:25], v[2:3]
	v_fma_f64 v[14:15], v[112:113], v[26:27], -v[0:1]
	ds_read_b128 v[0:3], v42 offset:4320
	v_add_f64 v[24:25], v[62:63], -v[24:25]
	s_waitcnt lgkmcnt(0)
	s_barrier
	buffer_gl0_inv
	v_mul_f64 v[26:27], v[94:95], v[0:1]
	v_mul_f64 v[70:71], v[94:95], v[2:3]
	v_add_f64 v[14:15], v[12:13], -v[14:15]
	v_fma_f64 v[2:3], v[92:93], v[2:3], -v[26:27]
	v_fma_f64 v[0:1], v[92:93], v[0:1], v[70:71]
	v_add_f64 v[26:27], v[4:5], -v[51:52]
	v_add_f64 v[51:52], v[36:37], -v[56:57]
	;; [unrolled: 1-line block ×4, first 2 shown]
	v_fma_f64 v[12:13], v[12:13], 2.0, -v[14:15]
	v_add_f64 v[68:69], v[60:61], -v[24:25]
	v_fma_f64 v[24:25], v[62:63], 2.0, -v[24:25]
	v_add_f64 v[14:15], v[10:11], v[14:15]
	v_add_f64 v[2:3], v[34:35], -v[2:3]
	v_add_f64 v[0:1], v[32:33], -v[0:1]
	v_fma_f64 v[4:5], v[4:5], 2.0, -v[26:27]
	v_fma_f64 v[36:37], v[36:37], 2.0, -v[51:52]
	;; [unrolled: 1-line block ×3, first 2 shown]
	v_add_f64 v[51:52], v[54:55], -v[51:52]
	v_add_f64 v[20:21], v[66:67], v[20:21]
	v_add_f64 v[62:63], v[26:27], v[58:59]
	v_fma_f64 v[28:29], v[28:29], 2.0, -v[66:67]
	v_add_f64 v[24:25], v[22:23], -v[24:25]
	v_fma_f64 v[10:11], v[10:11], 2.0, -v[14:15]
	v_fma_f64 v[58:59], v[68:69], s[2:3], v[18:19]
	v_add_f64 v[12:13], v[8:9], -v[12:13]
	v_fma_f64 v[60:61], v[60:61], 2.0, -v[68:69]
	v_fma_f64 v[34:35], v[34:35], 2.0, -v[2:3]
	v_add_f64 v[70:71], v[2:3], -v[64:65]
	v_add_f64 v[56:57], v[0:1], v[56:57]
	v_fma_f64 v[32:33], v[32:33], 2.0, -v[0:1]
	v_add_f64 v[36:37], v[4:5], -v[36:37]
	v_fma_f64 v[54:55], v[54:55], 2.0, -v[51:52]
	v_fma_f64 v[72:73], v[14:15], s[2:3], v[20:21]
	v_fma_f64 v[66:67], v[66:67], 2.0, -v[20:21]
	v_add_f64 v[43:44], v[28:29], -v[43:44]
	v_fma_f64 v[26:27], v[26:27], 2.0, -v[62:63]
	v_fma_f64 v[22:23], v[22:23], 2.0, -v[24:25]
	v_fma_f64 v[14:15], v[14:15], s[0:1], v[58:59]
	v_fma_f64 v[8:9], v[8:9], 2.0, -v[12:13]
	v_add_f64 v[49:50], v[34:35], -v[49:50]
	v_fma_f64 v[64:65], v[70:71], s[2:3], v[51:52]
	v_fma_f64 v[74:75], v[56:57], s[2:3], v[62:63]
	v_add_f64 v[47:48], v[32:33], -v[47:48]
	v_fma_f64 v[0:1], v[0:1], 2.0, -v[56:57]
	v_fma_f64 v[2:3], v[2:3], 2.0, -v[70:71]
	v_fma_f64 v[72:73], v[68:69], s[2:3], v[72:73]
	v_fma_f64 v[68:69], v[10:11], s[0:1], v[66:67]
	v_add_f64 v[58:59], v[43:44], v[12:13]
	v_fma_f64 v[78:79], v[4:5], 2.0, -v[36:37]
	v_fma_f64 v[4:5], v[60:61], s[0:1], v[16:17]
	v_fma_f64 v[28:29], v[28:29], 2.0, -v[43:44]
	v_fma_f64 v[18:19], v[18:19], 2.0, -v[14:15]
	v_add_f64 v[76:77], v[36:37], v[49:50]
	v_fma_f64 v[64:65], v[56:57], s[0:1], v[64:65]
	v_add_f64 v[56:57], v[45:46], -v[24:25]
	v_fma_f64 v[74:75], v[70:71], s[2:3], v[74:75]
	v_add_f64 v[70:71], v[38:39], -v[47:48]
	v_fma_f64 v[34:35], v[34:35], 2.0, -v[49:50]
	v_fma_f64 v[32:33], v[32:33], 2.0, -v[47:48]
	;; [unrolled: 1-line block ×4, first 2 shown]
	v_fma_f64 v[43:44], v[0:1], s[0:1], v[26:27]
	v_add_f64 v[22:23], v[28:29], -v[22:23]
	v_fma_f64 v[80:81], v[36:37], 2.0, -v[76:77]
	v_fma_f64 v[36:37], v[60:61], s[2:3], v[68:69]
	v_fma_f64 v[49:50], v[45:46], 2.0, -v[56:57]
	v_fma_f64 v[60:61], v[6:7], 2.0, -v[38:39]
	;; [unrolled: 1-line block ×3, first 2 shown]
	v_fma_f64 v[6:7], v[2:3], s[0:1], v[54:55]
	v_fma_f64 v[24:25], v[58:59], s[2:3], v[76:77]
	;; [unrolled: 1-line block ×3, first 2 shown]
	v_fma_f64 v[51:52], v[51:52], 2.0, -v[64:65]
	v_fma_f64 v[82:83], v[2:3], s[2:3], v[43:44]
	v_fma_f64 v[12:13], v[56:57], s[2:3], v[70:71]
	v_fma_f64 v[84:85], v[62:63], 2.0, -v[74:75]
	v_add_f64 v[32:33], v[78:79], -v[32:33]
	v_fma_f64 v[43:44], v[72:73], s[14:15], v[74:75]
	v_fma_f64 v[4:5], v[47:48], s[0:1], v[80:81]
	v_fma_f64 v[45:46], v[66:67], 2.0, -v[36:37]
	v_add_f64 v[34:35], v[60:61], -v[34:35]
	v_fma_f64 v[10:11], v[49:50], s[0:1], v[68:69]
	v_fma_f64 v[86:87], v[0:1], s[0:1], v[6:7]
	;; [unrolled: 1-line block ×3, first 2 shown]
	v_add_f64 v[24:25], v[30:31], -v[8:9]
	v_fma_f64 v[56:57], v[26:27], 2.0, -v[82:83]
	v_fma_f64 v[2:3], v[58:59], s[0:1], v[12:13]
	v_fma_f64 v[12:13], v[14:15], s[14:15], v[64:65]
	;; [unrolled: 1-line block ×4, first 2 shown]
	v_fma_f64 v[49:50], v[78:79], 2.0, -v[32:33]
	v_fma_f64 v[58:59], v[60:61], 2.0, -v[34:35]
	v_fma_f64 v[6:7], v[47:48], s[0:1], v[10:11]
	v_fma_f64 v[10:11], v[18:19], s[16:17], v[51:52]
	v_fma_f64 v[47:48], v[16:17], 2.0, -v[38:39]
	v_fma_f64 v[54:55], v[54:55], 2.0, -v[86:87]
	;; [unrolled: 1-line block ×4, first 2 shown]
	v_fma_f64 v[28:29], v[38:39], s[12:13], v[86:87]
	v_fma_f64 v[60:61], v[14:15], s[12:13], v[43:44]
	v_fma_f64 v[30:31], v[45:46], s[4:5], v[56:57]
	v_fma_f64 v[62:63], v[72:73], s[16:17], v[12:13]
	v_add_f64 v[12:13], v[32:33], v[24:25]
	v_add_f64 v[14:15], v[34:35], -v[22:23]
	v_fma_f64 v[8:9], v[18:19], s[14:15], v[8:9]
	v_fma_f64 v[10:11], v[20:21], s[4:5], v[10:11]
	;; [unrolled: 1-line block ×4, first 2 shown]
	v_add_f64 v[16:17], v[49:50], -v[16:17]
	v_add_f64 v[18:19], v[58:59], -v[26:27]
	v_fma_f64 v[22:23], v[36:37], s[4:5], v[28:29]
	v_fma_f64 v[36:37], v[74:75], 2.0, -v[60:61]
	v_fma_f64 v[24:25], v[47:48], s[12:13], v[30:31]
	v_fma_f64 v[47:48], v[80:81], 2.0, -v[4:5]
	v_fma_f64 v[28:29], v[32:33], 2.0, -v[12:13]
	;; [unrolled: 1-line block ×6, first 2 shown]
	v_fma_f64 v[20:21], v[38:39], s[14:15], v[20:21]
	v_fma_f64 v[26:27], v[45:46], s[16:17], v[43:44]
	v_fma_f64 v[38:39], v[64:65], 2.0, -v[62:63]
	v_fma_f64 v[43:44], v[49:50], 2.0, -v[16:17]
	;; [unrolled: 1-line block ×9, first 2 shown]
	ds_write_b128 v41, v[12:15] offset:576
	ds_write_b128 v41, v[0:3] offset:672
	;; [unrolled: 1-line block ×10, first 2 shown]
	ds_write_b128 v41, v[43:46]
	ds_write_b128 v41, v[47:50] offset:96
	ds_write_b128 v41, v[64:67] offset:144
	;; [unrolled: 1-line block ×5, first 2 shown]
	s_waitcnt lgkmcnt(0)
	s_barrier
	buffer_gl0_inv
	ds_read_b128 v[0:3], v42
	ds_read_b128 v[76:79], v42 offset:432
	ds_read_b128 v[36:39], v42 offset:4608
	;; [unrolled: 1-line block ×14, first 2 shown]
	s_and_saveexec_b32 s0, vcc_lo
	s_cbranch_execz .LBB0_23
; %bb.22:
	ds_read_b128 v[60:63], v42 offset:2160
	ds_read_b128 v[228:231], v42 offset:4464
	;; [unrolled: 1-line block ×3, first 2 shown]
.LBB0_23:
	s_or_b32 exec_lo, exec_lo, s0
	s_waitcnt lgkmcnt(12)
	v_mul_f64 v[47:48], v[182:183], v[38:39]
	s_waitcnt lgkmcnt(4)
	v_mul_f64 v[43:44], v[122:123], v[82:83]
	v_mul_f64 v[45:46], v[122:123], v[80:81]
	s_mov_b32 s0, 0xe8584caa
	s_mov_b32 s1, 0xbfebb67a
	s_mov_b32 s3, 0x3febb67a
	s_mov_b32 s2, s0
	s_waitcnt lgkmcnt(0)
	s_barrier
	buffer_gl0_inv
	v_fma_f64 v[47:48], v[180:181], v[36:37], v[47:48]
	v_mul_f64 v[36:37], v[182:183], v[36:37]
	v_fma_f64 v[43:44], v[120:121], v[80:81], v[43:44]
	v_fma_f64 v[45:46], v[120:121], v[82:83], -v[45:46]
	v_fma_f64 v[36:37], v[180:181], v[38:39], -v[36:37]
	v_mul_f64 v[38:39], v[194:195], v[34:35]
	v_fma_f64 v[38:39], v[192:193], v[32:33], v[38:39]
	v_mul_f64 v[32:33], v[194:195], v[32:33]
	v_fma_f64 v[32:33], v[192:193], v[34:35], -v[32:33]
	v_mul_f64 v[34:35], v[198:199], v[30:31]
	v_fma_f64 v[34:35], v[196:197], v[28:29], v[34:35]
	v_mul_f64 v[28:29], v[198:199], v[28:29]
	;; [unrolled: 4-line block ×5, first 2 shown]
	v_add_f64 v[20:21], v[32:33], -v[28:29]
	v_fma_f64 v[54:55], v[164:165], v[18:19], -v[16:17]
	v_mul_f64 v[16:17], v[170:171], v[10:11]
	v_fma_f64 v[56:57], v[168:169], v[8:9], v[16:17]
	v_mul_f64 v[8:9], v[170:171], v[8:9]
	v_add_f64 v[16:17], v[76:77], v[38:39]
	v_fma_f64 v[58:59], v[168:169], v[10:11], -v[8:9]
	v_mul_f64 v[8:9], v[186:187], v[14:15]
	v_fma_f64 v[80:81], v[184:185], v[12:13], v[8:9]
	v_mul_f64 v[8:9], v[186:187], v[12:13]
	v_add_f64 v[12:13], v[43:44], -v[47:48]
	v_fma_f64 v[82:83], v[184:185], v[14:15], -v[8:9]
	v_mul_f64 v[8:9], v[190:191], v[6:7]
	v_fma_f64 v[84:85], v[188:189], v[4:5], v[8:9]
	v_mul_f64 v[4:5], v[190:191], v[4:5]
	v_add_f64 v[8:9], v[45:46], -v[36:37]
	v_fma_f64 v[86:87], v[188:189], v[6:7], -v[4:5]
	v_mul_f64 v[4:5], v[154:155], v[230:231]
	v_fma_f64 v[88:89], v[152:153], v[228:229], v[4:5]
	v_mul_f64 v[4:5], v[154:155], v[228:229]
	v_fma_f64 v[90:91], v[152:153], v[230:231], -v[4:5]
	v_mul_f64 v[4:5], v[162:163], v[234:235]
	v_fma_f64 v[92:93], v[160:161], v[232:233], v[4:5]
	v_mul_f64 v[4:5], v[162:163], v[232:233]
	v_fma_f64 v[94:95], v[160:161], v[234:235], -v[4:5]
	v_add_f64 v[4:5], v[43:44], v[47:48]
	v_fma_f64 v[6:7], v[4:5], -0.5, v[0:1]
	v_add_f64 v[4:5], v[45:46], v[36:37]
	v_add_f64 v[0:1], v[0:1], v[43:44]
	;; [unrolled: 1-line block ×3, first 2 shown]
	v_fma_f64 v[10:11], v[4:5], -0.5, v[2:3]
	v_add_f64 v[2:3], v[2:3], v[45:46]
	v_add_f64 v[0:1], v[0:1], v[47:48]
	v_fma_f64 v[4:5], v[8:9], s[0:1], v[6:7]
	v_fma_f64 v[8:9], v[8:9], s[2:3], v[6:7]
	v_add_f64 v[47:48], v[54:55], -v[58:59]
	v_fma_f64 v[6:7], v[12:13], s[2:3], v[10:11]
	v_add_f64 v[2:3], v[2:3], v[36:37]
	v_fma_f64 v[10:11], v[12:13], s[0:1], v[10:11]
	ds_write_b128 v42, v[0:3]
	ds_write_b128 v42, v[4:7] offset:768
	ds_write_b128 v42, v[8:11] offset:1536
	buffer_load_dword v0, off, s[24:27], 0 offset:292 ; 4-byte Folded Reload
	v_add_f64 v[12:13], v[38:39], v[34:35]
	v_add_f64 v[36:37], v[72:73], v[30:31]
	v_fma_f64 v[18:19], v[12:13], -0.5, v[76:77]
	v_add_f64 v[12:13], v[32:33], v[28:29]
	v_fma_f64 v[22:23], v[12:13], -0.5, v[78:79]
	v_add_f64 v[12:13], v[78:79], v[32:33]
	v_add_f64 v[14:15], v[12:13], v[28:29]
	v_add_f64 v[28:29], v[38:39], -v[34:35]
	v_add_f64 v[12:13], v[16:17], v[34:35]
	v_fma_f64 v[16:17], v[20:21], s[0:1], v[18:19]
	v_fma_f64 v[20:21], v[20:21], s[2:3], v[18:19]
	v_add_f64 v[38:39], v[24:25], -v[26:27]
	v_fma_f64 v[18:19], v[28:29], s[2:3], v[22:23]
	v_fma_f64 v[22:23], v[28:29], s[0:1], v[22:23]
	v_add_f64 v[28:29], v[30:31], v[49:50]
	v_fma_f64 v[32:33], v[28:29], -0.5, v[72:73]
	v_add_f64 v[28:29], v[24:25], v[26:27]
	v_fma_f64 v[34:35], v[28:29], -0.5, v[74:75]
	v_add_f64 v[28:29], v[74:75], v[24:25]
	v_add_f64 v[24:25], v[36:37], v[49:50]
	v_add_f64 v[36:37], v[30:31], -v[49:50]
	v_add_f64 v[26:27], v[28:29], v[26:27]
	v_fma_f64 v[28:29], v[38:39], s[0:1], v[32:33]
	v_fma_f64 v[30:31], v[36:37], s[2:3], v[34:35]
	;; [unrolled: 1-line block ×4, first 2 shown]
	v_add_f64 v[36:37], v[51:52], v[56:57]
	v_add_f64 v[51:52], v[51:52], -v[56:57]
	s_waitcnt vmcnt(0)
	ds_write_b128 v0, v[12:15]
	ds_write_b128 v0, v[16:19] offset:768
	ds_write_b128 v0, v[20:23] offset:1536
	;; [unrolled: 1-line block ×3, first 2 shown]
	buffer_load_dword v0, off, s[24:27], 0 offset:308 ; 4-byte Folded Reload
	v_fma_f64 v[45:46], v[36:37], -0.5, v[68:69]
	v_add_f64 v[36:37], v[54:55], v[58:59]
	s_waitcnt vmcnt(0)
	ds_write_b128 v0, v[28:31] offset:3072
	ds_write_b128 v42, v[32:35] offset:3936
	buffer_load_dword v0, off, s[24:27], 0 offset:304 ; 4-byte Folded Reload
	v_fma_f64 v[49:50], v[36:37], -0.5, v[70:71]
	v_add_f64 v[36:37], v[70:71], v[54:55]
	v_add_f64 v[54:55], v[82:83], v[86:87]
	;; [unrolled: 1-line block ×4, first 2 shown]
	v_fma_f64 v[43:44], v[47:48], s[0:1], v[45:46]
	v_fma_f64 v[47:48], v[47:48], s[2:3], v[45:46]
	;; [unrolled: 1-line block ×4, first 2 shown]
	v_add_f64 v[51:52], v[80:81], v[84:85]
	v_add_f64 v[56:57], v[66:67], v[82:83]
	v_fma_f64 v[54:55], v[54:55], -0.5, v[66:67]
	v_add_f64 v[58:59], v[64:65], v[80:81]
	v_add_f64 v[66:67], v[90:91], -v[94:95]
	s_waitcnt vmcnt(0)
	ds_write_b128 v0, v[36:39]
	ds_write_b128 v0, v[43:46] offset:768
	ds_write_b128 v0, v[47:50] offset:1536
	buffer_load_dword v0, off, s[24:27], 0 offset:296 ; 4-byte Folded Reload
	v_fma_f64 v[51:52], v[51:52], -0.5, v[64:65]
	v_add_f64 v[64:65], v[82:83], -v[86:87]
	v_add_f64 v[74:75], v[56:57], v[86:87]
	v_add_f64 v[56:57], v[80:81], -v[84:85]
	v_add_f64 v[72:73], v[58:59], v[84:85]
	v_add_f64 v[58:59], v[60:61], v[88:89]
	v_fma_f64 v[76:77], v[64:65], s[0:1], v[51:52]
	v_fma_f64 v[80:81], v[64:65], s[2:3], v[51:52]
	;; [unrolled: 1-line block ×4, first 2 shown]
	v_add_f64 v[51:52], v[88:89], v[92:93]
	v_add_f64 v[54:55], v[90:91], v[94:95]
	;; [unrolled: 1-line block ×3, first 2 shown]
	s_waitcnt vmcnt(0)
	ds_write_b128 v0, v[72:75] offset:4608
	ds_write_b128 v0, v[76:79] offset:5376
	;; [unrolled: 1-line block ×3, first 2 shown]
	v_fma_f64 v[51:52], v[51:52], -0.5, v[60:61]
	v_fma_f64 v[54:55], v[54:55], -0.5, v[62:63]
	v_add_f64 v[62:63], v[56:57], v[94:95]
	v_add_f64 v[56:57], v[88:89], -v[92:93]
	v_add_f64 v[60:61], v[58:59], v[92:93]
	v_fma_f64 v[64:65], v[66:67], s[0:1], v[51:52]
	v_fma_f64 v[68:69], v[66:67], s[2:3], v[51:52]
	;; [unrolled: 1-line block ×4, first 2 shown]
	s_and_saveexec_b32 s0, vcc_lo
	s_cbranch_execz .LBB0_25
; %bb.24:
	buffer_load_dword v0, off, s[24:27], 0 offset:300 ; 4-byte Folded Reload
	s_waitcnt vmcnt(0)
	v_lshl_add_u32 v0, v0, 4, v53
	ds_write_b128 v0, v[60:63] offset:4608
	ds_write_b128 v0, v[64:67] offset:5376
	;; [unrolled: 1-line block ×3, first 2 shown]
.LBB0_25:
	s_or_b32 exec_lo, exec_lo, s0
	s_waitcnt lgkmcnt(0)
	s_barrier
	buffer_gl0_inv
	ds_read_b128 v[8:11], v42
	ds_read_b128 v[72:75], v42 offset:432
	ds_read_b128 v[84:87], v42 offset:4608
	;; [unrolled: 1-line block ×14, first 2 shown]
	v_add_nc_u32_e32 v41, 0x6c0, v132
	s_and_saveexec_b32 s0, vcc_lo
	s_cbranch_execz .LBB0_27
; %bb.26:
	ds_read_b128 v[60:63], v42 offset:2160
	ds_read_b128 v[64:67], v42 offset:4464
	;; [unrolled: 1-line block ×3, first 2 shown]
.LBB0_27:
	s_or_b32 exec_lo, exec_lo, s0
	s_waitcnt lgkmcnt(4)
	v_mul_f64 v[43:44], v[126:127], v[90:91]
	v_mul_f64 v[45:46], v[130:131], v[86:87]
	;; [unrolled: 1-line block ×12, first 2 shown]
	s_waitcnt lgkmcnt(2)
	v_mul_f64 v[100:101], v[206:207], v[34:35]
	v_mul_f64 v[102:103], v[206:207], v[32:33]
	;; [unrolled: 1-line block ×4, first 2 shown]
	s_waitcnt lgkmcnt(1)
	v_mul_f64 v[108:109], v[210:211], v[14:15]
	s_waitcnt lgkmcnt(0)
	v_mul_f64 v[110:111], v[214:215], v[18:19]
	s_mov_b32 s0, 0xe8584caa
	s_mov_b32 s1, 0xbfebb67a
	;; [unrolled: 1-line block ×3, first 2 shown]
	v_fma_f64 v[43:44], v[124:125], v[88:89], v[43:44]
	v_fma_f64 v[45:46], v[128:129], v[84:85], v[45:46]
	v_fma_f64 v[49:50], v[128:129], v[86:87], -v[49:50]
	v_mul_f64 v[84:85], v[210:211], v[12:13]
	v_mul_f64 v[86:87], v[214:215], v[16:17]
	v_fma_f64 v[47:48], v[124:125], v[90:91], -v[47:48]
	v_fma_f64 v[51:52], v[140:141], v[80:81], v[51:52]
	v_fma_f64 v[36:37], v[144:145], v[36:37], v[53:54]
	v_fma_f64 v[53:54], v[140:141], v[82:83], -v[55:56]
	v_fma_f64 v[38:39], v[144:145], v[38:39], -v[57:58]
	v_fma_f64 v[20:21], v[172:173], v[20:21], v[92:93]
	v_fma_f64 v[28:29], v[176:177], v[28:29], v[94:95]
	v_fma_f64 v[22:23], v[172:173], v[22:23], -v[96:97]
	v_fma_f64 v[30:31], v[176:177], v[30:31], -v[98:99]
	v_fma_f64 v[32:33], v[204:205], v[32:33], v[100:101]
	v_fma_f64 v[34:35], v[204:205], v[34:35], -v[102:103]
	v_fma_f64 v[55:56], v[200:201], v[24:25], v[104:105]
	;; [unrolled: 2-line block ×3, first 2 shown]
	v_fma_f64 v[80:81], v[212:213], v[16:17], v[110:111]
	v_add_f64 v[12:13], v[43:44], v[45:46]
	v_fma_f64 v[14:15], v[208:209], v[14:15], -v[84:85]
	v_fma_f64 v[82:83], v[212:213], v[18:19], -v[86:87]
	v_add_f64 v[16:17], v[47:48], v[49:50]
	v_add_f64 v[18:19], v[8:9], v[43:44]
	;; [unrolled: 1-line block ×3, first 2 shown]
	v_add_f64 v[84:85], v[47:48], -v[49:50]
	v_add_f64 v[86:87], v[53:54], v[38:39]
	v_add_f64 v[47:48], v[10:11], v[47:48]
	;; [unrolled: 1-line block ×6, first 2 shown]
	v_add_f64 v[110:111], v[20:21], -v[28:29]
	v_add_f64 v[98:99], v[32:33], v[55:56]
	v_add_f64 v[102:103], v[34:35], v[57:58]
	v_add_f64 v[43:44], v[43:44], -v[45:46]
	v_add_f64 v[104:105], v[24:25], v[80:81]
	v_add_f64 v[100:101], v[22:23], -v[30:31]
	;; [unrolled: 2-line block ×3, first 2 shown]
	v_fma_f64 v[106:107], v[12:13], -0.5, v[8:9]
	v_add_f64 v[53:54], v[74:75], v[53:54]
	v_add_f64 v[51:52], v[51:52], -v[36:37]
	v_add_f64 v[20:21], v[14:15], v[82:83]
	v_fma_f64 v[22:23], v[16:17], -0.5, v[10:11]
	v_add_f64 v[114:115], v[6:7], v[34:35]
	v_fma_f64 v[26:27], v[26:27], -0.5, v[72:73]
	v_add_f64 v[72:73], v[34:35], -v[57:58]
	v_fma_f64 v[34:35], v[86:87], -0.5, v[74:75]
	v_add_f64 v[112:113], v[4:5], v[32:33]
	v_add_f64 v[74:75], v[32:33], -v[55:56]
	v_fma_f64 v[32:33], v[90:91], -0.5, v[76:77]
	v_fma_f64 v[76:77], v[94:95], -0.5, v[78:79]
	v_add_f64 v[8:9], v[18:19], v[45:46]
	v_add_f64 v[10:11], v[47:48], v[49:50]
	v_fma_f64 v[45:46], v[98:99], -0.5, v[4:5]
	v_fma_f64 v[49:50], v[102:103], -0.5, v[6:7]
	v_add_f64 v[86:87], v[0:1], v[24:25]
	v_add_f64 v[116:117], v[2:3], v[14:15]
	v_add_f64 v[90:91], v[14:15], -v[82:83]
	v_add_f64 v[4:5], v[88:89], v[36:37]
	v_fma_f64 v[78:79], v[104:105], -0.5, v[0:1]
	v_fma_f64 v[12:13], v[84:85], s[0:1], v[106:107]
	v_fma_f64 v[16:17], v[84:85], s[2:3], v[106:107]
	v_add_f64 v[88:89], v[24:25], -v[80:81]
	v_fma_f64 v[84:85], v[20:21], -0.5, v[2:3]
	v_fma_f64 v[14:15], v[43:44], s[2:3], v[22:23]
	v_fma_f64 v[18:19], v[43:44], s[0:1], v[22:23]
	v_add_f64 v[6:7], v[53:54], v[38:39]
	v_fma_f64 v[0:1], v[92:93], s[0:1], v[26:27]
	v_fma_f64 v[2:3], v[51:52], s[2:3], v[34:35]
	v_fma_f64 v[20:21], v[92:93], s[2:3], v[26:27]
	v_fma_f64 v[22:23], v[51:52], s[0:1], v[34:35]
	v_add_f64 v[24:25], v[96:97], v[28:29]
	v_add_f64 v[26:27], v[108:109], v[30:31]
	v_fma_f64 v[28:29], v[100:101], s[0:1], v[32:33]
	v_fma_f64 v[30:31], v[110:111], s[2:3], v[76:77]
	v_fma_f64 v[32:33], v[100:101], s[2:3], v[32:33]
	v_fma_f64 v[34:35], v[110:111], s[0:1], v[76:77]
	v_add_f64 v[36:37], v[112:113], v[55:56]
	;; [unrolled: 6-line block ×3, first 2 shown]
	v_add_f64 v[74:75], v[116:117], v[82:83]
	v_fma_f64 v[76:77], v[90:91], s[0:1], v[78:79]
	v_fma_f64 v[80:81], v[90:91], s[2:3], v[78:79]
	;; [unrolled: 1-line block ×4, first 2 shown]
	ds_write_b128 v42, v[8:11]
	ds_write_b128 v42, v[12:15] offset:2304
	ds_write_b128 v42, v[16:19] offset:4608
	;; [unrolled: 1-line block ×14, first 2 shown]
	s_and_saveexec_b32 s4, vcc_lo
	s_cbranch_execz .LBB0_29
; %bb.28:
	s_clause 0x3
	buffer_load_dword v8, off, s[24:27], 0 offset:320
	buffer_load_dword v9, off, s[24:27], 0 offset:324
	;; [unrolled: 1-line block ×4, first 2 shown]
	v_mul_f64 v[2:3], v[138:139], v[68:69]
	v_mul_f64 v[6:7], v[138:139], v[70:71]
	v_fma_f64 v[2:3], v[136:137], v[70:71], -v[2:3]
	v_fma_f64 v[6:7], v[136:137], v[68:69], v[6:7]
	s_waitcnt vmcnt(0)
	v_mul_f64 v[0:1], v[10:11], v[64:65]
	v_mul_f64 v[4:5], v[10:11], v[66:67]
	v_fma_f64 v[0:1], v[8:9], v[66:67], -v[0:1]
	v_fma_f64 v[4:5], v[8:9], v[64:65], v[4:5]
	v_add_f64 v[8:9], v[0:1], v[2:3]
	v_add_f64 v[10:11], v[4:5], v[6:7]
	v_add_f64 v[12:13], v[4:5], -v[6:7]
	v_add_f64 v[14:15], v[62:63], v[0:1]
	v_add_f64 v[4:5], v[60:61], v[4:5]
	v_add_f64 v[16:17], v[0:1], -v[2:3]
	v_fma_f64 v[8:9], v[8:9], -0.5, v[62:63]
	v_fma_f64 v[18:19], v[10:11], -0.5, v[60:61]
	v_add_f64 v[2:3], v[14:15], v[2:3]
	v_add_f64 v[0:1], v[4:5], v[6:7]
	v_fma_f64 v[6:7], v[12:13], s[0:1], v[8:9]
	v_fma_f64 v[10:11], v[12:13], s[2:3], v[8:9]
	;; [unrolled: 1-line block ×4, first 2 shown]
	ds_write_b128 v42, v[0:3] offset:2160
	ds_write_b128 v42, v[8:11] offset:4464
	;; [unrolled: 1-line block ×3, first 2 shown]
.LBB0_29:
	s_or_b32 exec_lo, exec_lo, s4
	s_waitcnt lgkmcnt(0)
	s_barrier
	buffer_gl0_inv
	ds_read_b128 v[0:3], v42
	s_clause 0x1
	buffer_load_dword v4, off, s[24:27], 0
	buffer_load_dword v5, off, s[24:27], 0 offset:4
	v_or_b32_e32 v65, 0x120, v40
	v_mad_u64_u32 v[38:39], null, s8, v40, 0
	s_mov_b32 s2, 0xbda12f68
	s_mov_b32 s3, 0x3f62f684
	v_mad_u64_u32 v[47:48], null, s8, v65, 0
	s_mul_i32 s1, s9, 0x90
	s_mul_hi_u32 s4, s8, 0x90
	s_mul_i32 s0, s8, 0x90
	s_add_i32 s1, s4, s1
	s_lshl_b64 s[4:5], s[0:1], 4
	s_waitcnt vmcnt(1)
	v_mov_b32_e32 v33, v4
	s_waitcnt vmcnt(0)
	ds_read_b128 v[4:7], v42 offset:2304
	ds_read_b128 v[8:11], v42 offset:432
	ds_read_b128 v[12:15], v42 offset:4608
	s_clause 0x3
	buffer_load_dword v61, off, s[24:27], 0 offset:8
	buffer_load_dword v62, off, s[24:27], 0 offset:12
	buffer_load_dword v63, off, s[24:27], 0 offset:16
	buffer_load_dword v64, off, s[24:27], 0 offset:20
	ds_read_b128 v[16:19], v42 offset:5040
	ds_read_b128 v[20:23], v42 offset:2736
	ds_read_b128 v[24:27], v42 offset:3168
	ds_read_b128 v[28:31], v42 offset:1728
	v_mad_u64_u32 v[36:37], null, s10, v33, 0
	v_mov_b32_e32 v32, v37
	v_mov_b32_e32 v37, v39
	;; [unrolled: 1-line block ×3, first 2 shown]
	v_mad_u64_u32 v[48:49], null, s11, v33, v[32:33]
	ds_read_b128 v[32:35], v42 offset:864
	s_clause 0xf
	buffer_load_dword v88, off, s[24:27], 0 offset:256
	buffer_load_dword v89, off, s[24:27], 0 offset:260
	;; [unrolled: 1-line block ×16, first 2 shown]
	v_mad_u64_u32 v[40:41], null, s9, v40, v[37:38]
	v_mov_b32_e32 v37, v48
	v_lshlrev_b64 v[36:37], 4, v[36:37]
	v_mad_u64_u32 v[65:66], null, s9, v65, v[39:40]
	v_mov_b32_e32 v39, v40
	v_lshlrev_b64 v[38:39], 4, v[38:39]
	v_mov_b32_e32 v48, v65
	s_waitcnt vmcnt(16) lgkmcnt(8)
	v_mul_f64 v[43:44], v[63:64], v[2:3]
	v_mul_f64 v[45:46], v[63:64], v[0:1]
	s_waitcnt vmcnt(12) lgkmcnt(7)
	v_mul_f64 v[49:50], v[90:91], v[6:7]
	s_waitcnt vmcnt(8) lgkmcnt(5)
	v_mul_f64 v[53:54], v[80:81], v[14:15]
	v_mul_f64 v[55:56], v[80:81], v[12:13]
	s_waitcnt vmcnt(4)
	v_mul_f64 v[57:58], v[74:75], v[10:11]
	v_mul_f64 v[59:60], v[74:75], v[8:9]
	v_fma_f64 v[43:44], v[61:62], v[0:1], v[43:44]
	v_fma_f64 v[45:46], v[61:62], v[2:3], -v[45:46]
	ds_read_b128 v[0:3], v42 offset:1296
	s_clause 0x7
	buffer_load_dword v80, off, s[24:27], 0 offset:224
	buffer_load_dword v81, off, s[24:27], 0 offset:228
	;; [unrolled: 1-line block ×8, first 2 shown]
	v_mul_f64 v[51:52], v[90:91], v[4:5]
	s_waitcnt vmcnt(8) lgkmcnt(4)
	v_mul_f64 v[61:62], v[86:87], v[22:23]
	v_mul_f64 v[63:64], v[86:87], v[20:21]
	v_fma_f64 v[49:50], v[88:89], v[4:5], v[49:50]
	v_fma_f64 v[12:13], v[78:79], v[12:13], v[53:54]
	v_fma_f64 v[14:15], v[78:79], v[14:15], -v[55:56]
	v_fma_f64 v[53:54], v[72:73], v[8:9], v[57:58]
	v_fma_f64 v[55:56], v[72:73], v[10:11], -v[59:60]
	v_mul_f64 v[4:5], v[43:44], s[2:3]
	v_add_co_u32 v57, s0, s6, v36
	v_add_co_ci_u32_e64 v58, s0, s7, v37, s0
	v_fma_f64 v[51:52], v[88:89], v[6:7], -v[51:52]
	v_mul_f64 v[6:7], v[45:46], s[2:3]
	v_fma_f64 v[43:44], v[84:85], v[20:21], v[61:62]
	v_fma_f64 v[45:46], v[84:85], v[22:23], -v[63:64]
	v_add_co_u32 v22, s0, v57, v38
	v_add_co_ci_u32_e64 v23, s0, v58, v39, s0
	v_lshlrev_b64 v[36:37], 4, v[47:48]
	v_add_co_u32 v38, s0, v22, s4
	v_add_co_ci_u32_e64 v39, s0, s5, v23, s0
	v_mul_f64 v[8:9], v[49:50], s[2:3]
	v_mul_f64 v[12:13], v[12:13], s[2:3]
	;; [unrolled: 1-line block ×4, first 2 shown]
	s_mul_i32 s0, s9, 0xfffff8b0
	s_sub_i32 s1, s0, s8
	v_add_co_u32 v36, s0, v57, v36
	v_mul_f64 v[10:11], v[51:52], s[2:3]
	global_store_dwordx4 v[22:23], v[4:7], off
	v_mul_f64 v[22:23], v[55:56], s[2:3]
	v_mul_f64 v[4:5], v[43:44], s[2:3]
	v_mul_f64 v[6:7], v[45:46], s[2:3]
	v_mad_u64_u32 v[43:44], null, 0xfffff8b0, s8, v[38:39]
	v_add_co_ci_u32_e64 v37, s0, v58, v37, s0
	v_add_nc_u32_e32 v44, s1, v44
	v_add_co_u32 v47, s0, v43, s4
	s_mul_i32 s1, s9, 0xfffffefb
	v_add_co_ci_u32_e64 v48, s0, s5, v44, s0
	s_waitcnt vmcnt(4)
	v_mul_f64 v[66:67], v[82:83], v[18:19]
	s_waitcnt vmcnt(0) lgkmcnt(1)
	v_mul_f64 v[68:69], v[76:77], v[34:35]
	v_mul_f64 v[70:71], v[76:77], v[32:33]
	;; [unrolled: 1-line block ×3, first 2 shown]
	v_fma_f64 v[45:46], v[80:81], v[16:17], v[66:67]
	v_fma_f64 v[32:33], v[74:75], v[32:33], v[68:69]
	v_fma_f64 v[34:35], v[74:75], v[34:35], -v[70:71]
	v_fma_f64 v[40:41], v[80:81], v[18:19], -v[40:41]
	ds_read_b128 v[16:19], v42 offset:5472
	global_store_dwordx4 v[38:39], v[8:11], off
	global_store_dwordx4 v[36:37], v[12:15], off
	;; [unrolled: 1-line block ×4, first 2 shown]
	s_clause 0x3
	buffer_load_dword v51, off, s[24:27], 0 offset:160
	buffer_load_dword v52, off, s[24:27], 0 offset:164
	;; [unrolled: 1-line block ×4, first 2 shown]
	ds_read_b128 v[8:11], v42 offset:5904
	s_clause 0x3
	buffer_load_dword v57, off, s[24:27], 0 offset:144
	buffer_load_dword v58, off, s[24:27], 0 offset:148
	;; [unrolled: 1-line block ×4, first 2 shown]
	ds_read_b128 v[12:15], v42 offset:3600
	ds_read_b128 v[36:39], v42 offset:6336
	v_mul_f64 v[4:5], v[45:46], s[2:3]
	v_mul_f64 v[20:21], v[32:33], s[2:3]
	;; [unrolled: 1-line block ×3, first 2 shown]
	ds_read_b128 v[32:35], v42 offset:4032
	s_clause 0x7
	buffer_load_dword v69, off, s[24:27], 0 offset:56
	buffer_load_dword v70, off, s[24:27], 0 offset:60
	buffer_load_dword v71, off, s[24:27], 0 offset:64
	buffer_load_dword v72, off, s[24:27], 0 offset:68
	buffer_load_dword v75, off, s[24:27], 0 offset:112
	buffer_load_dword v76, off, s[24:27], 0 offset:116
	buffer_load_dword v77, off, s[24:27], 0 offset:120
	buffer_load_dword v78, off, s[24:27], 0 offset:124
	v_mul_f64 v[6:7], v[40:41], s[2:3]
	v_add_co_u32 v40, s0, v47, s4
	v_add_co_ci_u32_e64 v41, s0, s5, v48, s0
	s_mul_hi_u32 s0, s8, 0xfffffefb
	s_sub_i32 s0, s0, s8
	s_add_i32 s1, s0, s1
	s_mul_i32 s0, s8, 0xfffffefb
	s_lshl_b64 s[6:7], s[0:1], 4
	s_waitcnt vmcnt(12)
	v_mul_f64 v[43:44], v[53:54], v[26:27]
	v_mul_f64 v[49:50], v[53:54], v[24:25]
	s_waitcnt vmcnt(8) lgkmcnt(4)
	v_mul_f64 v[45:46], v[59:60], v[18:19]
	v_mul_f64 v[47:48], v[59:60], v[16:17]
	s_waitcnt vmcnt(0) lgkmcnt(2)
	v_mul_f64 v[53:54], v[77:78], v[14:15]
	v_mul_f64 v[55:56], v[77:78], v[12:13]
	s_clause 0x3
	buffer_load_dword v77, off, s[24:27], 0 offset:128
	buffer_load_dword v78, off, s[24:27], 0 offset:132
	;; [unrolled: 1-line block ×4, first 2 shown]
	v_fma_f64 v[24:25], v[51:52], v[24:25], v[43:44]
	v_fma_f64 v[26:27], v[51:52], v[26:27], -v[49:50]
	v_mul_f64 v[43:44], v[71:72], v[2:3]
	v_mul_f64 v[49:50], v[71:72], v[0:1]
	v_fma_f64 v[16:17], v[57:58], v[16:17], v[45:46]
	v_fma_f64 v[18:19], v[57:58], v[18:19], -v[47:48]
	s_clause 0x3
	buffer_load_dword v71, off, s[24:27], 0 offset:96
	buffer_load_dword v72, off, s[24:27], 0 offset:100
	;; [unrolled: 1-line block ×4, first 2 shown]
	v_add_co_u32 v51, s0, v40, s6
	v_add_co_ci_u32_e64 v52, s0, s7, v41, s0
	v_fma_f64 v[12:13], v[75:76], v[12:13], v[53:54]
	v_fma_f64 v[14:15], v[75:76], v[14:15], -v[55:56]
	v_mul_f64 v[12:13], v[12:13], s[2:3]
	v_mul_f64 v[14:15], v[14:15], s[2:3]
	s_waitcnt vmcnt(4)
	v_mul_f64 v[45:46], v[79:80], v[10:11]
	v_mul_f64 v[47:48], v[79:80], v[8:9]
	s_clause 0x3
	buffer_load_dword v79, off, s[24:27], 0 offset:176
	buffer_load_dword v80, off, s[24:27], 0 offset:180
	buffer_load_dword v81, off, s[24:27], 0 offset:184
	buffer_load_dword v82, off, s[24:27], 0 offset:188
	s_waitcnt vmcnt(4)
	v_mul_f64 v[57:58], v[73:74], v[30:31]
	v_mul_f64 v[59:60], v[73:74], v[28:29]
	s_waitcnt vmcnt(0) lgkmcnt(0)
	v_mul_f64 v[61:62], v[81:82], v[34:35]
	v_mul_f64 v[63:64], v[81:82], v[32:33]
	s_clause 0x3
	buffer_load_dword v81, off, s[24:27], 0 offset:192
	buffer_load_dword v82, off, s[24:27], 0 offset:196
	;; [unrolled: 1-line block ×4, first 2 shown]
	global_store_dwordx4 v[40:41], v[4:7], off
	global_store_dwordx4 v[51:52], v[20:23], off
	v_mul_f64 v[4:5], v[24:25], s[2:3]
	v_fma_f64 v[20:21], v[69:70], v[0:1], v[43:44]
	v_fma_f64 v[22:23], v[69:70], v[2:3], -v[49:50]
	v_fma_f64 v[24:25], v[71:72], v[28:29], v[57:58]
	v_mul_f64 v[0:1], v[16:17], s[2:3]
	v_mul_f64 v[2:3], v[18:19], s[2:3]
	v_fma_f64 v[16:17], v[77:78], v[8:9], v[45:46]
	v_fma_f64 v[18:19], v[77:78], v[10:11], -v[47:48]
	v_mul_f64 v[6:7], v[26:27], s[2:3]
	v_add_co_u32 v40, s0, v51, s4
	v_fma_f64 v[26:27], v[71:72], v[30:31], -v[59:60]
	v_add_co_ci_u32_e64 v41, s0, s5, v52, s0
	v_fma_f64 v[28:29], v[79:80], v[32:33], v[61:62]
	v_fma_f64 v[30:31], v[79:80], v[34:35], -v[63:64]
	v_mul_f64 v[8:9], v[20:21], s[2:3]
	v_mul_f64 v[10:11], v[22:23], s[2:3]
	;; [unrolled: 1-line block ×5, first 2 shown]
	global_store_dwordx4 v[40:41], v[4:7], off
	v_mul_f64 v[22:23], v[26:27], s[2:3]
	v_mul_f64 v[24:25], v[28:29], s[2:3]
	v_mul_f64 v[26:27], v[30:31], s[2:3]
	s_waitcnt vmcnt(0)
	v_mul_f64 v[65:66], v[83:84], v[38:39]
	v_mul_f64 v[67:68], v[83:84], v[36:37]
	v_fma_f64 v[32:33], v[81:82], v[36:37], v[65:66]
	v_fma_f64 v[34:35], v[81:82], v[38:39], -v[67:68]
	v_add_co_u32 v36, s0, v40, s4
	v_add_co_ci_u32_e64 v37, s0, s5, v41, s0
	v_add_co_u32 v38, s0, v36, s6
	v_add_co_ci_u32_e64 v39, s0, s7, v37, s0
	global_store_dwordx4 v[36:37], v[0:3], off
	v_add_co_u32 v43, s0, v38, s4
	v_add_co_ci_u32_e64 v44, s0, s5, v39, s0
	global_store_dwordx4 v[38:39], v[8:11], off
	v_mul_f64 v[28:29], v[32:33], s[2:3]
	v_add_co_u32 v32, s0, v43, s4
	v_add_co_ci_u32_e64 v33, s0, s5, v44, s0
	v_mul_f64 v[30:31], v[34:35], s[2:3]
	v_add_co_u32 v4, s0, v32, s6
	v_add_co_ci_u32_e64 v5, s0, s7, v33, s0
	v_add_co_u32 v2, s0, v4, s4
	v_add_co_ci_u32_e64 v3, s0, s5, v5, s0
	;; [unrolled: 2-line block ×3, first 2 shown]
	global_store_dwordx4 v[43:44], v[12:15], off
	global_store_dwordx4 v[32:33], v[16:19], off
	;; [unrolled: 1-line block ×5, first 2 shown]
	s_and_b32 exec_lo, exec_lo, vcc_lo
	s_cbranch_execz .LBB0_31
; %bb.30:
	s_clause 0x1
	buffer_load_dword v2, off, s[24:27], 0 offset:72
	buffer_load_dword v3, off, s[24:27], 0 offset:76
	s_waitcnt vmcnt(0)
	global_load_dwordx4 v[2:5], v[2:3], off offset:112
	ds_read_b128 v[6:9], v42 offset:2160
	ds_read_b128 v[10:13], v42 offset:4464
	s_waitcnt vmcnt(0) lgkmcnt(1)
	v_mul_f64 v[14:15], v[8:9], v[4:5]
	v_mul_f64 v[4:5], v[6:7], v[4:5]
	v_fma_f64 v[6:7], v[6:7], v[2:3], v[14:15]
	v_fma_f64 v[4:5], v[2:3], v[8:9], -v[4:5]
	v_mul_f64 v[2:3], v[6:7], s[2:3]
	v_mul_f64 v[4:5], v[4:5], s[2:3]
	v_add_co_u32 v6, vcc_lo, v0, s6
	v_add_co_ci_u32_e32 v7, vcc_lo, s7, v1, vcc_lo
	v_add_co_u32 v8, vcc_lo, v6, s4
	v_add_co_ci_u32_e32 v9, vcc_lo, s5, v7, vcc_lo
	global_store_dwordx4 v[6:7], v[2:5], off
	s_clause 0x1
	buffer_load_dword v0, off, s[24:27], 0 offset:40
	buffer_load_dword v1, off, s[24:27], 0 offset:44
	s_waitcnt vmcnt(0)
	global_load_dwordx4 v[0:3], v[0:1], off offset:368
	s_waitcnt vmcnt(0) lgkmcnt(0)
	v_mul_f64 v[4:5], v[12:13], v[2:3]
	v_mul_f64 v[2:3], v[10:11], v[2:3]
	v_fma_f64 v[4:5], v[10:11], v[0:1], v[4:5]
	v_fma_f64 v[2:3], v[0:1], v[12:13], -v[2:3]
	v_mul_f64 v[0:1], v[4:5], s[2:3]
	v_mul_f64 v[2:3], v[2:3], s[2:3]
	global_store_dwordx4 v[8:9], v[0:3], off
	s_clause 0x1
	buffer_load_dword v0, off, s[24:27], 0 offset:48
	buffer_load_dword v1, off, s[24:27], 0 offset:52
	ds_read_b128 v[4:7], v42 offset:6768
	s_waitcnt vmcnt(0)
	global_load_dwordx4 v[0:3], v[0:1], off offset:624
	s_waitcnt vmcnt(0) lgkmcnt(0)
	v_mul_f64 v[10:11], v[6:7], v[2:3]
	v_mul_f64 v[2:3], v[4:5], v[2:3]
	v_fma_f64 v[4:5], v[4:5], v[0:1], v[10:11]
	v_fma_f64 v[2:3], v[0:1], v[6:7], -v[2:3]
	v_mul_f64 v[0:1], v[4:5], s[2:3]
	v_mul_f64 v[2:3], v[2:3], s[2:3]
	v_add_co_u32 v4, vcc_lo, v8, s4
	v_add_co_ci_u32_e32 v5, vcc_lo, s5, v9, vcc_lo
	global_store_dwordx4 v[4:5], v[0:3], off
.LBB0_31:
	s_endpgm
	.section	.rodata,"a",@progbits
	.p2align	6, 0x0
	.amdhsa_kernel bluestein_single_back_len432_dim1_dp_op_CI_CI
		.amdhsa_group_segment_fixed_size 13824
		.amdhsa_private_segment_fixed_size 340
		.amdhsa_kernarg_size 104
		.amdhsa_user_sgpr_count 6
		.amdhsa_user_sgpr_private_segment_buffer 1
		.amdhsa_user_sgpr_dispatch_ptr 0
		.amdhsa_user_sgpr_queue_ptr 0
		.amdhsa_user_sgpr_kernarg_segment_ptr 1
		.amdhsa_user_sgpr_dispatch_id 0
		.amdhsa_user_sgpr_flat_scratch_init 0
		.amdhsa_user_sgpr_private_segment_size 0
		.amdhsa_wavefront_size32 1
		.amdhsa_uses_dynamic_stack 0
		.amdhsa_system_sgpr_private_segment_wavefront_offset 1
		.amdhsa_system_sgpr_workgroup_id_x 1
		.amdhsa_system_sgpr_workgroup_id_y 0
		.amdhsa_system_sgpr_workgroup_id_z 0
		.amdhsa_system_sgpr_workgroup_info 0
		.amdhsa_system_vgpr_workitem_id 0
		.amdhsa_next_free_vgpr 256
		.amdhsa_next_free_sgpr 28
		.amdhsa_reserve_vcc 1
		.amdhsa_reserve_flat_scratch 0
		.amdhsa_float_round_mode_32 0
		.amdhsa_float_round_mode_16_64 0
		.amdhsa_float_denorm_mode_32 3
		.amdhsa_float_denorm_mode_16_64 3
		.amdhsa_dx10_clamp 1
		.amdhsa_ieee_mode 1
		.amdhsa_fp16_overflow 0
		.amdhsa_workgroup_processor_mode 1
		.amdhsa_memory_ordered 1
		.amdhsa_forward_progress 0
		.amdhsa_shared_vgpr_count 0
		.amdhsa_exception_fp_ieee_invalid_op 0
		.amdhsa_exception_fp_denorm_src 0
		.amdhsa_exception_fp_ieee_div_zero 0
		.amdhsa_exception_fp_ieee_overflow 0
		.amdhsa_exception_fp_ieee_underflow 0
		.amdhsa_exception_fp_ieee_inexact 0
		.amdhsa_exception_int_div_zero 0
	.end_amdhsa_kernel
	.text
.Lfunc_end0:
	.size	bluestein_single_back_len432_dim1_dp_op_CI_CI, .Lfunc_end0-bluestein_single_back_len432_dim1_dp_op_CI_CI
                                        ; -- End function
	.section	.AMDGPU.csdata,"",@progbits
; Kernel info:
; codeLenInByte = 19748
; NumSgprs: 30
; NumVgprs: 256
; ScratchSize: 340
; MemoryBound: 0
; FloatMode: 240
; IeeeMode: 1
; LDSByteSize: 13824 bytes/workgroup (compile time only)
; SGPRBlocks: 3
; VGPRBlocks: 31
; NumSGPRsForWavesPerEU: 30
; NumVGPRsForWavesPerEU: 256
; Occupancy: 4
; WaveLimiterHint : 1
; COMPUTE_PGM_RSRC2:SCRATCH_EN: 1
; COMPUTE_PGM_RSRC2:USER_SGPR: 6
; COMPUTE_PGM_RSRC2:TRAP_HANDLER: 0
; COMPUTE_PGM_RSRC2:TGID_X_EN: 1
; COMPUTE_PGM_RSRC2:TGID_Y_EN: 0
; COMPUTE_PGM_RSRC2:TGID_Z_EN: 0
; COMPUTE_PGM_RSRC2:TIDIG_COMP_CNT: 0
	.text
	.p2alignl 6, 3214868480
	.fill 48, 4, 3214868480
	.type	__hip_cuid_9b405f5ad89b3225,@object ; @__hip_cuid_9b405f5ad89b3225
	.section	.bss,"aw",@nobits
	.globl	__hip_cuid_9b405f5ad89b3225
__hip_cuid_9b405f5ad89b3225:
	.byte	0                               ; 0x0
	.size	__hip_cuid_9b405f5ad89b3225, 1

	.ident	"AMD clang version 19.0.0git (https://github.com/RadeonOpenCompute/llvm-project roc-6.4.0 25133 c7fe45cf4b819c5991fe208aaa96edf142730f1d)"
	.section	".note.GNU-stack","",@progbits
	.addrsig
	.addrsig_sym __hip_cuid_9b405f5ad89b3225
	.amdgpu_metadata
---
amdhsa.kernels:
  - .args:
      - .actual_access:  read_only
        .address_space:  global
        .offset:         0
        .size:           8
        .value_kind:     global_buffer
      - .actual_access:  read_only
        .address_space:  global
        .offset:         8
        .size:           8
        .value_kind:     global_buffer
      - .actual_access:  read_only
        .address_space:  global
        .offset:         16
        .size:           8
        .value_kind:     global_buffer
      - .actual_access:  read_only
        .address_space:  global
        .offset:         24
        .size:           8
        .value_kind:     global_buffer
      - .actual_access:  read_only
        .address_space:  global
        .offset:         32
        .size:           8
        .value_kind:     global_buffer
      - .offset:         40
        .size:           8
        .value_kind:     by_value
      - .address_space:  global
        .offset:         48
        .size:           8
        .value_kind:     global_buffer
      - .address_space:  global
        .offset:         56
        .size:           8
        .value_kind:     global_buffer
      - .address_space:  global
        .offset:         64
        .size:           8
        .value_kind:     global_buffer
      - .address_space:  global
        .offset:         72
        .size:           8
        .value_kind:     global_buffer
      - .offset:         80
        .size:           4
        .value_kind:     by_value
      - .address_space:  global
        .offset:         88
        .size:           8
        .value_kind:     global_buffer
      - .address_space:  global
        .offset:         96
        .size:           8
        .value_kind:     global_buffer
    .group_segment_fixed_size: 13824
    .kernarg_segment_align: 8
    .kernarg_segment_size: 104
    .language:       OpenCL C
    .language_version:
      - 2
      - 0
    .max_flat_workgroup_size: 54
    .name:           bluestein_single_back_len432_dim1_dp_op_CI_CI
    .private_segment_fixed_size: 340
    .sgpr_count:     30
    .sgpr_spill_count: 0
    .symbol:         bluestein_single_back_len432_dim1_dp_op_CI_CI.kd
    .uniform_work_group_size: 1
    .uses_dynamic_stack: false
    .vgpr_count:     256
    .vgpr_spill_count: 84
    .wavefront_size: 32
    .workgroup_processor_mode: 1
amdhsa.target:   amdgcn-amd-amdhsa--gfx1030
amdhsa.version:
  - 1
  - 2
...

	.end_amdgpu_metadata
